;; amdgpu-corpus repo=ROCm/rocFFT kind=compiled arch=gfx906 opt=O3
	.text
	.amdgcn_target "amdgcn-amd-amdhsa--gfx906"
	.amdhsa_code_object_version 6
	.protected	fft_rtc_back_len1105_factors_17_13_5_wgs_255_tpt_85_halfLds_dp_op_CI_CI_sbrr_dirReg ; -- Begin function fft_rtc_back_len1105_factors_17_13_5_wgs_255_tpt_85_halfLds_dp_op_CI_CI_sbrr_dirReg
	.globl	fft_rtc_back_len1105_factors_17_13_5_wgs_255_tpt_85_halfLds_dp_op_CI_CI_sbrr_dirReg
	.p2align	8
	.type	fft_rtc_back_len1105_factors_17_13_5_wgs_255_tpt_85_halfLds_dp_op_CI_CI_sbrr_dirReg,@function
fft_rtc_back_len1105_factors_17_13_5_wgs_255_tpt_85_halfLds_dp_op_CI_CI_sbrr_dirReg: ; @fft_rtc_back_len1105_factors_17_13_5_wgs_255_tpt_85_halfLds_dp_op_CI_CI_sbrr_dirReg
; %bb.0:
	s_load_dwordx4 s[16:19], s[4:5], 0x18
	s_load_dwordx4 s[8:11], s[4:5], 0x0
	;; [unrolled: 1-line block ×3, first 2 shown]
	v_mul_u32_u24_e32 v1, 0x304, v0
	v_lshrrev_b32_e32 v1, 16, v1
	s_waitcnt lgkmcnt(0)
	s_load_dwordx2 s[22:23], s[16:17], 0x0
	s_load_dwordx2 s[20:21], s[18:19], 0x0
	v_mad_u64_u32 v[1:2], s[0:1], s6, 3, v[1:2]
	v_mov_b32_e32 v5, 0
	v_mov_b32_e32 v3, 0
	;; [unrolled: 1-line block ×3, first 2 shown]
	v_cmp_lt_u64_e64 s[0:1], s[10:11], 2
	v_mov_b32_e32 v4, 0
	v_mov_b32_e32 v99, v4
	;; [unrolled: 1-line block ×3, first 2 shown]
	s_and_b64 vcc, exec, s[0:1]
	v_mov_b32_e32 v98, v3
	v_mov_b32_e32 v100, v1
	s_cbranch_vccnz .LBB0_8
; %bb.1:
	s_load_dwordx2 s[0:1], s[4:5], 0x10
	s_add_u32 s2, s18, 8
	s_addc_u32 s3, s19, 0
	s_add_u32 s6, s16, 8
	v_mov_b32_e32 v3, 0
	s_addc_u32 s7, s17, 0
	v_mov_b32_e32 v4, 0
	s_waitcnt lgkmcnt(0)
	s_add_u32 s24, s0, 8
	v_mov_b32_e32 v99, v4
	v_mov_b32_e32 v8, v2
	s_addc_u32 s25, s1, 0
	s_mov_b64 s[26:27], 1
	v_mov_b32_e32 v98, v3
	v_mov_b32_e32 v7, v1
.LBB0_2:                                ; =>This Inner Loop Header: Depth=1
	s_load_dwordx2 s[28:29], s[24:25], 0x0
                                        ; implicit-def: $vgpr100_vgpr101
	s_waitcnt lgkmcnt(0)
	v_or_b32_e32 v6, s29, v8
	v_cmp_ne_u64_e32 vcc, 0, v[5:6]
	s_and_saveexec_b64 s[0:1], vcc
	s_xor_b64 s[30:31], exec, s[0:1]
	s_cbranch_execz .LBB0_4
; %bb.3:                                ;   in Loop: Header=BB0_2 Depth=1
	v_cvt_f32_u32_e32 v2, s28
	v_cvt_f32_u32_e32 v6, s29
	s_sub_u32 s0, 0, s28
	s_subb_u32 s1, 0, s29
	v_mac_f32_e32 v2, 0x4f800000, v6
	v_rcp_f32_e32 v2, v2
	v_mul_f32_e32 v2, 0x5f7ffffc, v2
	v_mul_f32_e32 v6, 0x2f800000, v2
	v_trunc_f32_e32 v6, v6
	v_mac_f32_e32 v2, 0xcf800000, v6
	v_cvt_u32_f32_e32 v6, v6
	v_cvt_u32_f32_e32 v2, v2
	v_mul_lo_u32 v9, s0, v6
	v_mul_hi_u32 v10, s0, v2
	v_mul_lo_u32 v12, s1, v2
	v_mul_lo_u32 v11, s0, v2
	v_add_u32_e32 v9, v10, v9
	v_add_u32_e32 v9, v9, v12
	v_mul_hi_u32 v10, v2, v11
	v_mul_lo_u32 v12, v2, v9
	v_mul_hi_u32 v14, v2, v9
	v_mul_hi_u32 v13, v6, v11
	v_mul_lo_u32 v11, v6, v11
	v_mul_hi_u32 v15, v6, v9
	v_add_co_u32_e32 v10, vcc, v10, v12
	v_addc_co_u32_e32 v12, vcc, 0, v14, vcc
	v_mul_lo_u32 v9, v6, v9
	v_add_co_u32_e32 v10, vcc, v10, v11
	v_addc_co_u32_e32 v10, vcc, v12, v13, vcc
	v_addc_co_u32_e32 v11, vcc, 0, v15, vcc
	v_add_co_u32_e32 v9, vcc, v10, v9
	v_addc_co_u32_e32 v10, vcc, 0, v11, vcc
	v_add_co_u32_e32 v2, vcc, v2, v9
	v_addc_co_u32_e32 v6, vcc, v6, v10, vcc
	v_mul_lo_u32 v9, s0, v6
	v_mul_hi_u32 v10, s0, v2
	v_mul_lo_u32 v11, s1, v2
	v_mul_lo_u32 v12, s0, v2
	v_add_u32_e32 v9, v10, v9
	v_add_u32_e32 v9, v9, v11
	v_mul_lo_u32 v13, v2, v9
	v_mul_hi_u32 v14, v2, v12
	v_mul_hi_u32 v15, v2, v9
	;; [unrolled: 1-line block ×3, first 2 shown]
	v_mul_lo_u32 v12, v6, v12
	v_mul_hi_u32 v10, v6, v9
	v_add_co_u32_e32 v13, vcc, v14, v13
	v_addc_co_u32_e32 v14, vcc, 0, v15, vcc
	v_mul_lo_u32 v9, v6, v9
	v_add_co_u32_e32 v12, vcc, v13, v12
	v_addc_co_u32_e32 v11, vcc, v14, v11, vcc
	v_addc_co_u32_e32 v10, vcc, 0, v10, vcc
	v_add_co_u32_e32 v9, vcc, v11, v9
	v_addc_co_u32_e32 v10, vcc, 0, v10, vcc
	v_add_co_u32_e32 v2, vcc, v2, v9
	v_addc_co_u32_e32 v6, vcc, v6, v10, vcc
	v_mad_u64_u32 v[9:10], s[0:1], v7, v6, 0
	v_mul_hi_u32 v11, v7, v2
	v_add_co_u32_e32 v13, vcc, v11, v9
	v_addc_co_u32_e32 v14, vcc, 0, v10, vcc
	v_mad_u64_u32 v[9:10], s[0:1], v8, v2, 0
	v_mad_u64_u32 v[11:12], s[0:1], v8, v6, 0
	v_add_co_u32_e32 v2, vcc, v13, v9
	v_addc_co_u32_e32 v2, vcc, v14, v10, vcc
	v_addc_co_u32_e32 v6, vcc, 0, v12, vcc
	v_add_co_u32_e32 v2, vcc, v2, v11
	v_addc_co_u32_e32 v6, vcc, 0, v6, vcc
	v_mul_lo_u32 v11, s29, v2
	v_mul_lo_u32 v12, s28, v6
	v_mad_u64_u32 v[9:10], s[0:1], s28, v2, 0
	v_add3_u32 v10, v10, v12, v11
	v_sub_u32_e32 v11, v8, v10
	v_mov_b32_e32 v12, s29
	v_sub_co_u32_e32 v9, vcc, v7, v9
	v_subb_co_u32_e64 v11, s[0:1], v11, v12, vcc
	v_subrev_co_u32_e64 v12, s[0:1], s28, v9
	v_subbrev_co_u32_e64 v11, s[0:1], 0, v11, s[0:1]
	v_cmp_le_u32_e64 s[0:1], s29, v11
	v_cndmask_b32_e64 v13, 0, -1, s[0:1]
	v_cmp_le_u32_e64 s[0:1], s28, v12
	v_cndmask_b32_e64 v12, 0, -1, s[0:1]
	v_cmp_eq_u32_e64 s[0:1], s29, v11
	v_cndmask_b32_e64 v11, v13, v12, s[0:1]
	v_add_co_u32_e64 v12, s[0:1], 2, v2
	v_addc_co_u32_e64 v13, s[0:1], 0, v6, s[0:1]
	v_add_co_u32_e64 v14, s[0:1], 1, v2
	v_addc_co_u32_e64 v15, s[0:1], 0, v6, s[0:1]
	v_subb_co_u32_e32 v10, vcc, v8, v10, vcc
	v_cmp_ne_u32_e64 s[0:1], 0, v11
	v_cmp_le_u32_e32 vcc, s29, v10
	v_cndmask_b32_e64 v11, v15, v13, s[0:1]
	v_cndmask_b32_e64 v13, 0, -1, vcc
	v_cmp_le_u32_e32 vcc, s28, v9
	v_cndmask_b32_e64 v9, 0, -1, vcc
	v_cmp_eq_u32_e32 vcc, s29, v10
	v_cndmask_b32_e32 v9, v13, v9, vcc
	v_cmp_ne_u32_e32 vcc, 0, v9
	v_cndmask_b32_e32 v101, v6, v11, vcc
	v_cndmask_b32_e64 v6, v14, v12, s[0:1]
	v_cndmask_b32_e32 v100, v2, v6, vcc
.LBB0_4:                                ;   in Loop: Header=BB0_2 Depth=1
	s_andn2_saveexec_b64 s[0:1], s[30:31]
	s_cbranch_execz .LBB0_6
; %bb.5:                                ;   in Loop: Header=BB0_2 Depth=1
	v_cvt_f32_u32_e32 v2, s28
	s_sub_i32 s30, 0, s28
	v_mov_b32_e32 v101, v5
	v_rcp_iflag_f32_e32 v2, v2
	v_mul_f32_e32 v2, 0x4f7ffffe, v2
	v_cvt_u32_f32_e32 v2, v2
	v_mul_lo_u32 v6, s30, v2
	v_mul_hi_u32 v6, v2, v6
	v_add_u32_e32 v2, v2, v6
	v_mul_hi_u32 v2, v7, v2
	v_mul_lo_u32 v6, v2, s28
	v_add_u32_e32 v9, 1, v2
	v_sub_u32_e32 v6, v7, v6
	v_subrev_u32_e32 v10, s28, v6
	v_cmp_le_u32_e32 vcc, s28, v6
	v_cndmask_b32_e32 v6, v6, v10, vcc
	v_cndmask_b32_e32 v2, v2, v9, vcc
	v_add_u32_e32 v9, 1, v2
	v_cmp_le_u32_e32 vcc, s28, v6
	v_cndmask_b32_e32 v100, v2, v9, vcc
.LBB0_6:                                ;   in Loop: Header=BB0_2 Depth=1
	s_or_b64 exec, exec, s[0:1]
	v_mul_lo_u32 v2, v101, s28
	v_mul_lo_u32 v6, v100, s29
	v_mad_u64_u32 v[9:10], s[0:1], v100, s28, 0
	s_load_dwordx2 s[0:1], s[6:7], 0x0
	s_load_dwordx2 s[28:29], s[2:3], 0x0
	v_add3_u32 v2, v10, v6, v2
	v_sub_co_u32_e32 v6, vcc, v7, v9
	v_subb_co_u32_e32 v2, vcc, v8, v2, vcc
	s_waitcnt lgkmcnt(0)
	v_mul_lo_u32 v7, s0, v2
	v_mul_lo_u32 v8, s1, v6
	v_mad_u64_u32 v[3:4], s[0:1], s0, v6, v[3:4]
	s_add_u32 s26, s26, 1
	s_addc_u32 s27, s27, 0
	s_add_u32 s2, s2, 8
	v_mul_lo_u32 v2, s28, v2
	v_mul_lo_u32 v9, s29, v6
	v_mad_u64_u32 v[98:99], s[0:1], s28, v6, v[98:99]
	v_add3_u32 v4, v8, v4, v7
	s_addc_u32 s3, s3, 0
	v_mov_b32_e32 v6, s10
	s_add_u32 s6, s6, 8
	v_mov_b32_e32 v7, s11
	s_addc_u32 s7, s7, 0
	v_cmp_ge_u64_e32 vcc, s[26:27], v[6:7]
	s_add_u32 s24, s24, 8
	v_add3_u32 v99, v9, v99, v2
	s_addc_u32 s25, s25, 0
	s_cbranch_vccnz .LBB0_8
; %bb.7:                                ;   in Loop: Header=BB0_2 Depth=1
	v_mov_b32_e32 v7, v100
	v_mov_b32_e32 v8, v101
	s_branch .LBB0_2
.LBB0_8:
	s_load_dwordx2 s[0:1], s[4:5], 0x28
	s_mov_b32 s4, 0x3030304
	v_mul_hi_u32 v2, v0, s4
	s_lshl_b64 s[2:3], s[10:11], 3
	s_add_u32 s4, s18, s2
	s_waitcnt lgkmcnt(0)
	v_cmp_gt_u64_e32 vcc, s[0:1], v[100:101]
	v_mul_u32_u24_e32 v2, 0x55, v2
	v_sub_u32_e32 v142, v0, v2
	s_movk_i32 s0, 0x41
	v_cmp_gt_u32_e64 s[0:1], s0, v142
	s_addc_u32 s5, s19, s3
	s_and_b64 s[10:11], vcc, s[0:1]
                                        ; implicit-def: $vgpr8_vgpr9
                                        ; implicit-def: $vgpr12_vgpr13
                                        ; implicit-def: $vgpr16_vgpr17
                                        ; implicit-def: $vgpr24_vgpr25
                                        ; implicit-def: $vgpr28_vgpr29
                                        ; implicit-def: $vgpr32_vgpr33
                                        ; implicit-def: $vgpr36_vgpr37
                                        ; implicit-def: $vgpr40_vgpr41
                                        ; implicit-def: $vgpr44_vgpr45
                                        ; implicit-def: $vgpr48_vgpr49
                                        ; implicit-def: $vgpr52_vgpr53
                                        ; implicit-def: $vgpr56_vgpr57
                                        ; implicit-def: $vgpr60_vgpr61
                                        ; implicit-def: $vgpr64_vgpr65
                                        ; implicit-def: $vgpr68_vgpr69
                                        ; implicit-def: $vgpr72_vgpr73
                                        ; implicit-def: $vgpr20_vgpr21
	s_and_saveexec_b64 s[6:7], s[10:11]
	s_cbranch_execz .LBB0_10
; %bb.9:
	s_add_u32 s2, s16, s2
	s_addc_u32 s3, s17, s3
	s_load_dwordx2 s[2:3], s[2:3], 0x0
	v_mad_u64_u32 v[5:6], s[10:11], s22, v142, 0
	v_add_u32_e32 v12, 0xc3, v142
	v_mov_b32_e32 v0, v6
	s_waitcnt lgkmcnt(0)
	v_mul_lo_u32 v2, s3, v100
	v_mul_lo_u32 v11, s2, v101
	v_mad_u64_u32 v[7:8], s[2:3], s2, v100, 0
	v_mad_u64_u32 v[9:10], s[2:3], s23, v142, v[0:1]
	v_add3_u32 v8, v8, v11, v2
	v_lshlrev_b64 v[7:8], 4, v[7:8]
	v_mov_b32_e32 v6, v9
	v_mov_b32_e32 v0, s13
	v_add_co_u32_e64 v9, s[2:3], s12, v7
	v_lshlrev_b64 v[2:3], 4, v[3:4]
	v_add_u32_e32 v4, 0x41, v142
	v_addc_co_u32_e64 v0, s[2:3], v0, v8, s[2:3]
	v_mad_u64_u32 v[7:8], s[2:3], s22, v4, 0
	v_add_co_u32_e64 v16, s[2:3], v9, v2
	v_addc_co_u32_e64 v17, s[2:3], v0, v3, s[2:3]
	v_mov_b32_e32 v0, v8
	v_lshlrev_b64 v[2:3], 4, v[5:6]
	v_mad_u64_u32 v[4:5], s[2:3], s23, v4, v[0:1]
	v_add_u32_e32 v9, 0x82, v142
	v_mad_u64_u32 v[5:6], s[2:3], s22, v9, 0
	v_add_co_u32_e64 v2, s[2:3], v16, v2
	v_mov_b32_e32 v0, v6
	v_addc_co_u32_e64 v3, s[2:3], v17, v3, s[2:3]
	v_mad_u64_u32 v[9:10], s[2:3], s23, v9, v[0:1]
	v_mad_u64_u32 v[10:11], s[2:3], s22, v12, 0
	v_mov_b32_e32 v8, v4
	v_lshlrev_b64 v[7:8], 4, v[7:8]
	v_mov_b32_e32 v6, v9
	v_add_co_u32_e64 v7, s[2:3], v16, v7
	v_mov_b32_e32 v0, v11
	v_addc_co_u32_e64 v8, s[2:3], v17, v8, s[2:3]
	v_lshlrev_b64 v[4:5], 4, v[5:6]
	v_mad_u64_u32 v[11:12], s[2:3], s23, v12, v[0:1]
	v_add_u32_e32 v6, 0x104, v142
	v_mad_u64_u32 v[12:13], s[2:3], s22, v6, 0
	v_add_co_u32_e64 v4, s[2:3], v16, v4
	v_mov_b32_e32 v0, v13
	v_addc_co_u32_e64 v5, s[2:3], v17, v5, s[2:3]
	v_mad_u64_u32 v[13:14], s[2:3], s23, v6, v[0:1]
	v_add_u32_e32 v6, 0x145, v142
	v_mad_u64_u32 v[14:15], s[2:3], s22, v6, 0
	v_lshlrev_b64 v[9:10], 4, v[10:11]
	global_load_dwordx4 v[18:21], v[2:3], off
	global_load_dwordx4 v[70:73], v[7:8], off
	v_add_co_u32_e64 v74, s[2:3], v16, v9
	v_mov_b32_e32 v0, v15
	v_addc_co_u32_e64 v75, s[2:3], v17, v10, s[2:3]
	v_lshlrev_b64 v[9:10], 4, v[12:13]
	v_mad_u64_u32 v[11:12], s[2:3], s23, v6, v[0:1]
	v_add_u32_e32 v6, 0x186, v142
	v_mad_u64_u32 v[12:13], s[2:3], s22, v6, 0
	v_add_co_u32_e64 v76, s[2:3], v16, v9
	v_mov_b32_e32 v15, v11
	v_mov_b32_e32 v0, v13
	v_addc_co_u32_e64 v77, s[2:3], v17, v10, s[2:3]
	v_lshlrev_b64 v[9:10], 4, v[14:15]
	v_mad_u64_u32 v[13:14], s[2:3], s23, v6, v[0:1]
	v_add_u32_e32 v6, 0x1c7, v142
	v_mad_u64_u32 v[14:15], s[2:3], s22, v6, 0
	v_add_co_u32_e64 v78, s[2:3], v16, v9
	v_mov_b32_e32 v0, v15
	v_addc_co_u32_e64 v79, s[2:3], v17, v10, s[2:3]
	v_lshlrev_b64 v[9:10], 4, v[12:13]
	v_mad_u64_u32 v[11:12], s[2:3], s23, v6, v[0:1]
	v_add_u32_e32 v6, 0x208, v142
	v_mad_u64_u32 v[12:13], s[2:3], s22, v6, 0
	v_add_co_u32_e64 v80, s[2:3], v16, v9
	v_mov_b32_e32 v15, v11
	v_mov_b32_e32 v0, v13
	v_addc_co_u32_e64 v81, s[2:3], v17, v10, s[2:3]
	v_lshlrev_b64 v[9:10], 4, v[14:15]
	v_mad_u64_u32 v[13:14], s[2:3], s23, v6, v[0:1]
	v_add_u32_e32 v6, 0x249, v142
	v_mad_u64_u32 v[14:15], s[2:3], s22, v6, 0
	;; [unrolled: 15-line block ×5, first 2 shown]
	v_add_co_u32_e64 v94, s[2:3], v16, v9
	v_mov_b32_e32 v0, v15
	v_addc_co_u32_e64 v95, s[2:3], v17, v10, s[2:3]
	v_lshlrev_b64 v[9:10], 4, v[12:13]
	v_mad_u64_u32 v[11:12], s[2:3], s23, v6, v[0:1]
	v_add_u32_e32 v6, 0x410, v142
	v_mad_u64_u32 v[12:13], s[2:3], s22, v6, 0
	v_add_co_u32_e64 v96, s[2:3], v16, v9
	v_mov_b32_e32 v15, v11
	v_mov_b32_e32 v0, v13
	v_addc_co_u32_e64 v97, s[2:3], v17, v10, s[2:3]
	v_lshlrev_b64 v[9:10], 4, v[14:15]
	v_mad_u64_u32 v[13:14], s[2:3], s23, v6, v[0:1]
	v_add_co_u32_e64 v102, s[2:3], v16, v9
	v_lshlrev_b64 v[2:3], 4, v[12:13]
	v_addc_co_u32_e64 v103, s[2:3], v17, v10, s[2:3]
	v_add_co_u32_e64 v2, s[2:3], v16, v2
	v_addc_co_u32_e64 v3, s[2:3], v17, v3, s[2:3]
	global_load_dwordx4 v[66:69], v[4:5], off
	global_load_dwordx4 v[62:65], v[74:75], off
	;; [unrolled: 1-line block ×15, first 2 shown]
.LBB0_10:
	s_or_b64 exec, exec, s[6:7]
	s_waitcnt vmcnt(0)
	v_add_f64 v[4:5], v[72:73], -v[8:9]
	s_mov_b32 s16, 0x7c9e640b
	s_mov_b32 s22, 0xeb564b22
	;; [unrolled: 1-line block ×4, first 2 shown]
	v_add_f64 v[74:75], v[6:7], v[70:71]
	v_add_f64 v[76:77], v[68:69], -v[12:13]
	s_mov_b32 s2, 0x2b2883cd
	v_mul_f64 v[116:117], v[4:5], s[16:17]
	v_mul_f64 v[132:133], v[4:5], s[22:23]
	s_mov_b32 s28, 0x6c9a05f6
	s_mov_b32 s6, 0x3259b75e
	;; [unrolled: 1-line block ×7, first 2 shown]
	v_add_f64 v[78:79], v[10:11], v[66:67]
	v_fma_f64 v[2:3], v[74:75], s[2:3], -v[116:117]
	v_mul_f64 v[124:125], v[76:77], s[28:29]
	v_mul_f64 v[138:139], v[76:77], s[30:31]
	v_fma_f64 v[82:83], v[74:75], s[6:7], -v[132:133]
	v_add_f64 v[80:81], v[64:65], -v[16:17]
	s_mov_b32 s10, 0x6ed5f1bb
	s_mov_b32 s12, 0x7faef3
	;; [unrolled: 1-line block ×8, first 2 shown]
	v_add_f64 v[2:3], v[18:19], v[2:3]
	v_fma_f64 v[86:87], v[78:79], s[10:11], -v[124:125]
	v_add_f64 v[88:89], v[18:19], v[82:83]
	v_fma_f64 v[90:91], v[78:79], s[12:13], -v[138:139]
	v_add_f64 v[84:85], v[14:15], v[62:63]
	v_mul_f64 v[94:95], v[80:81], s[38:39]
	v_mul_f64 v[140:141], v[80:81], s[36:37]
	v_add_f64 v[82:83], v[60:61], -v[24:25]
	s_mov_b32 s18, 0xc61f0d01
	s_mov_b32 s19, 0xbfd183b1
	v_add_f64 v[2:3], v[86:87], v[2:3]
	v_add_f64 v[88:89], v[90:91], v[88:89]
	;; [unrolled: 1-line block ×3, first 2 shown]
	v_fma_f64 v[90:91], v[84:85], s[12:13], -v[94:95]
	v_fma_f64 v[92:93], v[84:85], s[18:19], -v[140:141]
	v_mul_f64 v[108:109], v[82:83], s[36:37]
	s_mov_b32 s42, 0x5d8e7cdc
	s_mov_b32 s43, 0x3fd71e95
	v_mul_f64 v[118:119], v[82:83], s[42:43]
	s_mov_b32 s40, 0x2a9d6da3
	s_mov_b32 s24, 0x370991
	v_add_f64 v[2:3], v[90:91], v[2:3]
	v_add_f64 v[96:97], v[92:93], v[88:89]
	v_add_f64 v[88:89], v[56:57], -v[28:29]
	v_fma_f64 v[92:93], v[86:87], s[18:19], -v[108:109]
	s_mov_b32 s41, 0x3fe58eea
	s_mov_b32 s25, 0x3fedd6d0
	v_add_f64 v[90:91], v[26:27], v[54:55]
	v_fma_f64 v[102:103], v[86:87], s[24:25], -v[118:119]
	s_mov_b32 s26, 0x75d4884
	s_mov_b32 s44, 0x4363dd80
	v_mul_f64 v[114:115], v[88:89], s[40:41]
	v_mul_f64 v[120:121], v[88:89], s[16:17]
	v_add_f64 v[2:3], v[92:93], v[2:3]
	v_add_f64 v[92:93], v[52:53], -v[32:33]
	s_mov_b32 s27, 0x3fe7a5f6
	s_mov_b32 s47, 0xbfd71e95
	;; [unrolled: 1-line block ×4, first 2 shown]
	v_fma_f64 v[106:107], v[90:91], s[26:27], -v[114:115]
	v_add_f64 v[102:103], v[102:103], v[96:97]
	v_fma_f64 v[110:111], v[90:91], s[2:3], -v[120:121]
	v_add_f64 v[104:105], v[30:31], v[50:51]
	v_mul_f64 v[122:123], v[92:93], s[46:47]
	v_mul_f64 v[128:129], v[92:93], s[44:45]
	v_add_f64 v[96:97], v[48:49], -v[36:37]
	s_mov_b32 s34, 0x910ea3b9
	s_mov_b32 s35, 0xbfeb34fa
	;; [unrolled: 1-line block ×4, first 2 shown]
	v_add_f64 v[2:3], v[106:107], v[2:3]
	v_add_f64 v[102:103], v[110:111], v[102:103]
	v_fma_f64 v[112:113], v[104:105], s[24:25], -v[122:123]
	v_fma_f64 v[130:131], v[104:105], s[34:35], -v[128:129]
	v_add_f64 v[110:111], v[34:35], v[46:47]
	v_mul_f64 v[126:127], v[96:97], s[22:23]
	v_mul_f64 v[134:135], v[96:97], s[48:49]
	v_add_f64 v[106:107], v[44:45], -v[40:41]
	s_mov_b32 s33, 0xaaaaaaab
	v_mul_hi_u32 v0, v1, s33
	v_add_f64 v[2:3], v[112:113], v[2:3]
	v_add_f64 v[102:103], v[130:131], v[102:103]
	;; [unrolled: 1-line block ×3, first 2 shown]
	v_fma_f64 v[143:144], v[110:111], s[6:7], -v[126:127]
	v_fma_f64 v[145:146], v[110:111], s[10:11], -v[134:135]
	v_mul_f64 v[130:131], v[106:107], s[44:45]
	v_mul_f64 v[136:137], v[106:107], s[40:41]
	v_lshrrev_b32_e32 v0, 1, v0
	v_lshl_add_u32 v0, v0, 1, v0
	v_sub_u32_e32 v0, v1, v0
	v_mul_u32_u24_e32 v0, 0x451, v0
	v_add_f64 v[2:3], v[143:144], v[2:3]
	v_add_f64 v[143:144], v[145:146], v[102:103]
	v_fma_f64 v[102:103], v[112:113], s[34:35], -v[130:131]
	v_fma_f64 v[145:146], v[112:113], s[26:27], -v[136:137]
	v_add_f64 v[102:103], v[102:103], v[2:3]
	v_add_f64 v[2:3], v[145:146], v[143:144]
	v_lshlrev_b32_e32 v143, 3, v0
	s_and_saveexec_b64 s[50:51], s[0:1]
	s_cbranch_execz .LBB0_12
; %bb.11:
	v_mul_f64 v[0:1], v[74:75], s[12:13]
	v_mul_f64 v[156:157], v[78:79], s[24:25]
	;; [unrolled: 1-line block ×3, first 2 shown]
	s_mov_b32 s53, 0x3fe0d888
	s_mov_b32 s52, s44
	v_mul_f64 v[174:175], v[86:87], s[26:27]
	s_mov_b32 s61, 0xbfe58eea
	s_mov_b32 s60, s40
	v_fma_f64 v[158:159], v[4:5], s[38:39], v[0:1]
	v_fma_f64 v[0:1], v[4:5], s[30:31], v[0:1]
	;; [unrolled: 1-line block ×5, first 2 shown]
	v_mul_f64 v[178:179], v[90:91], s[10:11]
	v_fma_f64 v[168:169], v[80:81], s[44:45], v[168:169]
	v_mul_f64 v[184:185], v[104:105], s[2:3]
	v_add_f64 v[158:159], v[18:19], v[158:159]
	v_add_f64 v[0:1], v[18:19], v[0:1]
	v_mul_f64 v[188:189], v[110:111], s[18:19]
	s_mov_b32 s55, 0x3feca52d
	s_mov_b32 s54, s16
	;; [unrolled: 1-line block ×4, first 2 shown]
	v_mul_f64 v[186:187], v[112:113], s[6:7]
	v_add_f64 v[158:159], v[170:171], v[158:159]
	v_add_f64 v[0:1], v[156:157], v[0:1]
	v_fma_f64 v[156:157], v[82:83], s[60:61], v[174:175]
	v_fma_f64 v[174:175], v[82:83], s[40:41], v[174:175]
	v_mul_f64 v[192:193], v[84:85], s[6:7]
	s_mov_b32 s57, 0x3fefdd0d
	s_mov_b32 s56, s22
	v_mul_f64 v[196:197], v[74:75], s[10:11]
	v_add_f64 v[158:159], v[176:177], v[158:159]
	v_add_f64 v[0:1], v[168:169], v[0:1]
	v_fma_f64 v[168:169], v[88:89], s[48:49], v[178:179]
	v_fma_f64 v[178:179], v[88:89], s[28:29], v[178:179]
	;; [unrolled: 1-line block ×4, first 2 shown]
	v_mul_f64 v[198:199], v[104:105], s[12:13]
	v_fma_f64 v[202:203], v[4:5], s[48:49], v[196:197]
	v_add_f64 v[156:157], v[156:157], v[158:159]
	v_add_f64 v[0:1], v[174:175], v[0:1]
	v_fma_f64 v[174:175], v[92:93], s[16:17], v[184:185]
	v_fma_f64 v[184:185], v[92:93], s[54:55], v[184:185]
	;; [unrolled: 1-line block ×3, first 2 shown]
	v_mul_f64 v[146:147], v[74:75], s[6:7]
	v_fma_f64 v[204:205], v[92:93], s[38:39], v[198:199]
	v_add_f64 v[202:203], v[18:19], v[202:203]
	v_add_f64 v[156:157], v[168:169], v[156:157]
	v_mul_f64 v[168:169], v[74:75], s[34:35]
	v_add_f64 v[0:1], v[178:179], v[0:1]
	v_fma_f64 v[178:179], v[96:97], s[36:37], v[188:189]
	v_fma_f64 v[188:189], v[96:97], s[58:59], v[188:189]
	v_add_f64 v[196:197], v[18:19], v[196:197]
	v_fma_f64 v[198:199], v[92:93], s[30:31], v[198:199]
	v_mul_f64 v[144:145], v[74:75], s[2:3]
	v_add_f64 v[156:157], v[174:175], v[156:157]
	v_mul_f64 v[174:175], v[78:79], s[2:3]
	v_fma_f64 v[190:191], v[4:5], s[52:53], v[168:169]
	v_fma_f64 v[168:169], v[4:5], s[44:45], v[168:169]
	v_add_f64 v[0:1], v[184:185], v[0:1]
	v_fma_f64 v[184:185], v[106:107], s[22:23], v[186:187]
	v_fma_f64 v[186:187], v[106:107], s[56:57], v[186:187]
	v_mul_f64 v[150:151], v[78:79], s[12:13]
	v_add_f64 v[156:157], v[178:179], v[156:157]
	v_fma_f64 v[178:179], v[76:77], s[16:17], v[174:175]
	v_add_f64 v[190:191], v[18:19], v[190:191]
	v_fma_f64 v[174:175], v[76:77], s[54:55], v[174:175]
	v_add_f64 v[168:169], v[18:19], v[168:169]
	v_add_f64 v[0:1], v[188:189], v[0:1]
	v_mul_f64 v[188:189], v[86:87], s[10:11]
	v_add_f64 v[132:133], v[132:133], v[146:147]
	v_add_f64 v[156:157], v[184:185], v[156:157]
	v_mul_f64 v[184:185], v[112:113], s[18:19]
	v_add_f64 v[178:179], v[178:179], v[190:191]
	v_mul_f64 v[146:147], v[104:105], s[6:7]
	v_add_f64 v[168:169], v[174:175], v[168:169]
	v_add_f64 v[0:1], v[186:187], v[0:1]
	v_mul_f64 v[186:187], v[90:91], s[24:25]
	v_fma_f64 v[190:191], v[82:83], s[28:29], v[188:189]
	v_fma_f64 v[188:189], v[82:83], s[48:49], v[188:189]
	v_mul_f64 v[148:149], v[78:79], s[10:11]
	v_add_f64 v[174:175], v[194:195], v[178:179]
	v_mul_f64 v[178:179], v[110:111], s[26:27]
	v_add_f64 v[168:169], v[192:193], v[168:169]
	v_mul_f64 v[192:193], v[78:79], s[18:19]
	v_fma_f64 v[200:201], v[88:89], s[42:43], v[186:187]
	v_fma_f64 v[186:187], v[88:89], s[46:47], v[186:187]
	;; [unrolled: 1-line block ×4, first 2 shown]
	v_add_f64 v[174:175], v[190:191], v[174:175]
	v_fma_f64 v[190:191], v[96:97], s[60:61], v[178:179]
	v_add_f64 v[168:169], v[188:189], v[168:169]
	v_mul_f64 v[188:189], v[84:85], s[24:25]
	v_fma_f64 v[178:179], v[96:97], s[40:41], v[178:179]
	v_mul_f64 v[154:155], v[84:85], s[18:19]
	v_add_f64 v[138:139], v[138:139], v[150:151]
	v_add_f64 v[132:133], v[18:19], v[132:133]
	;; [unrolled: 1-line block ×3, first 2 shown]
	v_fma_f64 v[200:201], v[76:77], s[58:59], v[192:193]
	v_fma_f64 v[192:193], v[76:77], s[36:37], v[192:193]
	v_add_f64 v[168:169], v[186:187], v[168:169]
	v_mul_f64 v[186:187], v[86:87], s[34:35]
	v_fma_f64 v[150:151], v[92:93], s[56:57], v[146:147]
	v_add_f64 v[116:117], v[116:117], v[144:145]
	v_mul_f64 v[152:153], v[84:85], s[12:13]
	v_add_f64 v[174:175], v[204:205], v[174:175]
	v_fma_f64 v[204:205], v[80:81], s[42:43], v[188:189]
	v_add_f64 v[200:201], v[200:201], v[202:203]
	v_fma_f64 v[188:189], v[80:81], s[46:47], v[188:189]
	v_add_f64 v[192:193], v[192:193], v[196:197]
	v_add_f64 v[168:169], v[198:199], v[168:169]
	v_fma_f64 v[196:197], v[82:83], s[52:53], v[186:187]
	v_fma_f64 v[186:187], v[82:83], s[44:45], v[186:187]
	v_add_f64 v[174:175], v[190:191], v[174:175]
	v_mul_f64 v[190:191], v[90:91], s[6:7]
	v_add_f64 v[198:199], v[204:205], v[200:201]
	v_mul_f64 v[162:163], v[86:87], s[24:25]
	v_add_f64 v[188:189], v[188:189], v[192:193]
	v_add_f64 v[168:169], v[178:179], v[168:169]
	v_mul_f64 v[178:179], v[104:105], s[26:27]
	v_add_f64 v[140:141], v[140:141], v[154:155]
	v_add_f64 v[174:175], v[194:195], v[174:175]
	v_fma_f64 v[192:193], v[88:89], s[22:23], v[190:191]
	v_add_f64 v[194:195], v[196:197], v[198:199]
	v_fma_f64 v[190:191], v[88:89], s[56:57], v[190:191]
	v_add_f64 v[186:187], v[186:187], v[188:189]
	v_add_f64 v[168:169], v[184:185], v[168:169]
	v_mul_f64 v[184:185], v[74:75], s[18:19]
	v_mul_f64 v[196:197], v[110:111], s[12:13]
	v_fma_f64 v[198:199], v[92:93], s[40:41], v[178:179]
	v_fma_f64 v[178:179], v[92:93], s[60:61], v[178:179]
	v_add_f64 v[192:193], v[192:193], v[194:195]
	v_mul_f64 v[194:195], v[78:79], s[34:35]
	v_add_f64 v[186:187], v[190:191], v[186:187]
	v_mul_f64 v[188:189], v[112:113], s[2:3]
	v_fma_f64 v[200:201], v[4:5], s[58:59], v[184:185]
	v_fma_f64 v[202:203], v[96:97], s[38:39], v[196:197]
	;; [unrolled: 1-line block ×4, first 2 shown]
	v_add_f64 v[192:193], v[198:199], v[192:193]
	v_fma_f64 v[198:199], v[76:77], s[52:53], v[194:195]
	v_add_f64 v[178:179], v[178:179], v[186:187]
	v_mul_f64 v[186:187], v[84:85], s[26:27]
	v_add_f64 v[200:201], v[18:19], v[200:201]
	v_fma_f64 v[190:191], v[106:107], s[16:17], v[188:189]
	v_fma_f64 v[194:195], v[76:77], s[44:45], v[194:195]
	v_add_f64 v[184:185], v[18:19], v[184:185]
	v_add_f64 v[192:193], v[202:203], v[192:193]
	v_fma_f64 v[188:189], v[106:107], s[54:55], v[188:189]
	v_add_f64 v[178:179], v[196:197], v[178:179]
	v_mul_f64 v[196:197], v[86:87], s[2:3]
	v_fma_f64 v[202:203], v[80:81], s[40:41], v[186:187]
	v_add_f64 v[198:199], v[198:199], v[200:201]
	v_fma_f64 v[186:187], v[80:81], s[60:61], v[186:187]
	v_add_f64 v[184:185], v[194:195], v[184:185]
	v_add_f64 v[190:191], v[190:191], v[192:193]
	v_mul_f64 v[192:193], v[112:113], s[10:11]
	v_add_f64 v[178:179], v[188:189], v[178:179]
	v_mul_f64 v[188:189], v[90:91], s[12:13]
	v_fma_f64 v[194:195], v[82:83], s[16:17], v[196:197]
	v_add_f64 v[198:199], v[202:203], v[198:199]
	v_fma_f64 v[196:197], v[82:83], s[54:55], v[196:197]
	v_add_f64 v[184:185], v[186:187], v[184:185]
	v_mul_f64 v[186:187], v[110:111], s[24:25]
	v_add_f64 v[132:133], v[138:139], v[132:133]
	v_add_f64 v[124:125], v[124:125], v[148:149]
	v_fma_f64 v[202:203], v[88:89], s[30:31], v[188:189]
	v_add_f64 v[116:117], v[18:19], v[116:117]
	v_add_f64 v[194:195], v[194:195], v[198:199]
	v_mul_f64 v[166:167], v[90:91], s[2:3]
	v_add_f64 v[184:185], v[196:197], v[184:185]
	v_fma_f64 v[196:197], v[96:97], s[42:43], v[186:187]
	v_fma_f64 v[186:187], v[96:97], s[46:47], v[186:187]
	;; [unrolled: 1-line block ×3, first 2 shown]
	v_add_f64 v[118:119], v[118:119], v[162:163]
	v_add_f64 v[132:133], v[140:141], v[132:133]
	;; [unrolled: 1-line block ×5, first 2 shown]
	v_mul_f64 v[160:161], v[86:87], s[18:19]
	v_add_f64 v[120:121], v[120:121], v[166:167]
	v_mul_f64 v[164:165], v[90:91], s[26:27]
	v_mul_f64 v[170:171], v[104:105], s[34:35]
	v_add_f64 v[118:119], v[118:119], v[132:133]
	v_add_f64 v[138:139], v[150:151], v[144:145]
	;; [unrolled: 1-line block ×5, first 2 shown]
	v_mul_f64 v[132:133], v[78:79], s[6:7]
	v_mul_f64 v[172:173], v[104:105], s[24:25]
	v_mul_f64 v[180:181], v[110:111], s[10:11]
	v_add_f64 v[118:119], v[120:121], v[118:119]
	v_add_f64 v[124:125], v[186:187], v[138:139]
	;; [unrolled: 1-line block ×3, first 2 shown]
	v_mul_f64 v[144:145], v[74:75], s[26:27]
	v_add_f64 v[128:129], v[128:129], v[170:171]
	v_add_f64 v[114:115], v[114:115], v[164:165]
	;; [unrolled: 1-line block ×3, first 2 shown]
	v_mul_f64 v[108:109], v[84:85], s[10:11]
	v_mul_f64 v[176:177], v[110:111], s[6:7]
	v_add_f64 v[116:117], v[148:149], v[124:125]
	v_add_f64 v[124:125], v[62:63], v[138:139]
	v_fma_f64 v[138:139], v[4:5], s[40:41], v[144:145]
	v_add_f64 v[134:135], v[134:135], v[180:181]
	v_add_f64 v[118:119], v[128:129], v[118:119]
	;; [unrolled: 1-line block ×4, first 2 shown]
	v_mul_f64 v[114:115], v[86:87], s[12:13]
	v_fma_f64 v[128:129], v[80:81], s[48:49], v[108:109]
	v_add_f64 v[120:121], v[58:59], v[124:125]
	v_fma_f64 v[124:125], v[76:77], s[56:57], v[132:133]
	v_add_f64 v[138:139], v[18:19], v[138:139]
	v_add_f64 v[118:119], v[134:135], v[118:119]
	v_add_f64 v[126:127], v[126:127], v[176:177]
	v_add_f64 v[94:95], v[122:123], v[94:95]
	v_mul_f64 v[122:123], v[90:91], s[34:35]
	v_fma_f64 v[134:135], v[82:83], s[38:39], v[114:115]
	v_add_f64 v[120:121], v[54:55], v[120:121]
	v_mul_f64 v[74:75], v[74:75], s[24:25]
	v_add_f64 v[124:125], v[124:125], v[138:139]
	v_mul_f64 v[78:79], v[78:79], s[26:27]
	v_fma_f64 v[144:145], v[4:5], s[60:61], v[144:145]
	v_add_f64 v[94:95], v[126:127], v[94:95]
	v_fma_f64 v[126:127], v[88:89], s[44:45], v[122:123]
	v_mul_f64 v[84:85], v[84:85], s[2:3]
	v_add_f64 v[120:121], v[50:51], v[120:121]
	v_fma_f64 v[150:151], v[4:5], s[46:47], v[74:75]
	v_add_f64 v[124:125], v[128:129], v[124:125]
	v_fma_f64 v[4:5], v[4:5], s[42:43], v[74:75]
	v_fma_f64 v[74:75], v[76:77], s[60:61], v[78:79]
	v_add_f64 v[144:145], v[18:19], v[144:145]
	v_mul_f64 v[86:87], v[86:87], s[6:7]
	v_fma_f64 v[108:109], v[80:81], s[28:29], v[108:109]
	v_add_f64 v[120:121], v[46:47], v[120:121]
	v_mul_f64 v[90:91], v[90:91], s[18:19]
	v_add_f64 v[124:125], v[134:135], v[124:125]
	v_add_f64 v[4:5], v[18:19], v[4:5]
	v_fma_f64 v[114:115], v[82:83], s[30:31], v[114:115]
	v_fma_f64 v[188:189], v[88:89], s[38:39], v[188:189]
	v_mul_f64 v[138:139], v[104:105], s[18:19]
	v_mul_f64 v[104:105], v[104:105], s[10:11]
	v_add_f64 v[120:121], v[42:43], v[120:121]
	v_mul_f64 v[182:183], v[112:113], s[34:35]
	v_add_f64 v[124:125], v[126:127], v[124:125]
	v_fma_f64 v[126:127], v[76:77], s[22:23], v[132:133]
	v_add_f64 v[132:133], v[18:19], v[150:151]
	v_fma_f64 v[76:77], v[76:77], s[40:41], v[78:79]
	v_fma_f64 v[18:19], v[80:81], s[16:17], v[84:85]
	;; [unrolled: 1-line block ×3, first 2 shown]
	v_add_f64 v[120:121], v[38:39], v[120:121]
	v_fma_f64 v[84:85], v[88:89], s[52:53], v[122:123]
	v_fma_f64 v[146:147], v[92:93], s[22:23], v[146:147]
	v_add_f64 v[184:185], v[188:189], v[184:185]
	v_add_f64 v[74:75], v[74:75], v[132:133]
	;; [unrolled: 1-line block ×3, first 2 shown]
	v_fma_f64 v[76:77], v[82:83], s[22:23], v[86:87]
	v_fma_f64 v[82:83], v[82:83], s[56:57], v[86:87]
	v_add_f64 v[78:79], v[34:35], v[120:121]
	v_add_f64 v[120:121], v[126:127], v[144:145]
	v_mul_f64 v[86:87], v[110:111], s[34:35]
	v_add_f64 v[128:129], v[130:131], v[182:183]
	v_add_f64 v[18:19], v[18:19], v[74:75]
	;; [unrolled: 1-line block ×3, first 2 shown]
	v_fma_f64 v[80:81], v[88:89], s[58:59], v[90:91]
	v_fma_f64 v[88:89], v[88:89], s[36:37], v[90:91]
	v_add_f64 v[74:75], v[30:31], v[78:79]
	v_add_f64 v[78:79], v[108:109], v[120:121]
	v_mul_f64 v[130:131], v[110:111], s[2:3]
	v_add_f64 v[146:147], v[146:147], v[184:185]
	v_add_f64 v[18:19], v[76:77], v[18:19]
	;; [unrolled: 1-line block ×3, first 2 shown]
	v_fma_f64 v[82:83], v[92:93], s[28:29], v[104:105]
	v_fma_f64 v[148:149], v[92:93], s[58:59], v[138:139]
	v_add_f64 v[74:75], v[26:27], v[74:75]
	v_add_f64 v[76:77], v[114:115], v[78:79]
	v_fma_f64 v[78:79], v[92:93], s[36:37], v[138:139]
	v_fma_f64 v[90:91], v[92:93], s[48:49], v[104:105]
	v_add_f64 v[18:19], v[80:81], v[18:19]
	v_add_f64 v[4:5], v[88:89], v[4:5]
	v_fma_f64 v[88:89], v[96:97], s[44:45], v[86:87]
	v_mul_f64 v[134:135], v[112:113], s[24:25]
	v_add_f64 v[74:75], v[22:23], v[74:75]
	v_add_f64 v[76:77], v[84:85], v[76:77]
	v_mul_f64 v[84:85], v[112:113], s[12:13]
	v_fma_f64 v[80:81], v[96:97], s[54:55], v[130:131]
	v_add_f64 v[18:19], v[82:83], v[18:19]
	v_mul_f64 v[158:159], v[112:113], s[26:27]
	v_add_f64 v[140:141], v[196:197], v[146:147]
	v_fma_f64 v[146:147], v[96:97], s[16:17], v[130:131]
	v_add_f64 v[74:75], v[14:15], v[74:75]
	v_add_f64 v[76:77], v[78:79], v[76:77]
	;; [unrolled: 1-line block ×3, first 2 shown]
	v_fma_f64 v[86:87], v[96:97], s[52:53], v[86:87]
	v_add_f64 v[4:5], v[90:91], v[4:5]
	v_fma_f64 v[90:91], v[106:107], s[30:31], v[84:85]
	v_add_f64 v[18:19], v[88:89], v[18:19]
	;; [unrolled: 2-line block ×3, first 2 shown]
	v_add_f64 v[76:77], v[80:81], v[76:77]
	v_add_f64 v[136:137], v[136:137], v[158:159]
	v_fma_f64 v[200:201], v[106:107], s[48:49], v[192:193]
	v_fma_f64 v[80:81], v[106:107], s[46:47], v[134:135]
	v_add_f64 v[78:79], v[146:147], v[78:79]
	v_fma_f64 v[84:85], v[106:107], s[38:39], v[84:85]
	v_add_f64 v[4:5], v[86:87], v[4:5]
	v_add_f64 v[18:19], v[90:91], v[18:19]
	v_add_f64 v[74:75], v[6:7], v[74:75]
	v_add_f64 v[86:87], v[128:129], v[94:95]
	v_add_f64 v[76:77], v[82:83], v[76:77]
	v_add_f64 v[82:83], v[136:137], v[118:119]
	v_add_f64 v[88:89], v[200:201], v[140:141]
	v_add_f64 v[78:79], v[80:81], v[78:79]
	v_mul_u32_u24_e32 v80, 0x88, v142
	v_add3_u32 v80, 0, v80, v143
	v_add_f64 v[4:5], v[84:85], v[4:5]
	ds_write2_b64 v80, v[74:75], v[18:19] offset1:1
	ds_write2_b64 v80, v[76:77], v[86:87] offset0:2 offset1:3
	ds_write2_b64 v80, v[82:83], v[116:117] offset0:4 offset1:5
	;; [unrolled: 1-line block ×7, first 2 shown]
	ds_write_b64 v80, v[4:5] offset:128
.LBB0_12:
	s_or_b64 exec, exec, s[50:51]
	v_add_f64 v[130:131], v[70:71], -v[6:7]
	v_add_f64 v[128:129], v[8:9], v[72:73]
	v_add_f64 v[126:127], v[66:67], -v[10:11]
	v_add_f64 v[120:121], v[12:13], v[68:69]
	v_add_f64 v[116:117], v[62:63], -v[14:15]
	v_add_f64 v[112:113], v[16:17], v[64:65]
	v_add_f64 v[106:107], v[58:59], -v[22:23]
	v_add_f64 v[104:105], v[24:25], v[60:61]
	v_mul_f64 v[134:135], v[130:131], s[16:17]
	v_mul_f64 v[132:133], v[130:131], s[22:23]
	;; [unrolled: 1-line block ×6, first 2 shown]
	v_add_f64 v[62:63], v[54:55], -v[26:27]
	v_mul_f64 v[118:119], v[106:107], s[36:37]
	v_fma_f64 v[0:1], v[128:129], s[2:3], v[134:135]
	v_fma_f64 v[4:5], v[128:129], s[6:7], v[132:133]
	;; [unrolled: 1-line block ×4, first 2 shown]
	v_mul_f64 v[114:115], v[106:107], s[42:43]
	v_fma_f64 v[18:19], v[112:113], s[12:13], v[122:123]
	v_fma_f64 v[26:27], v[112:113], s[18:19], v[124:125]
	v_add_f64 v[58:59], v[28:29], v[56:57]
	v_add_f64 v[0:1], v[20:21], v[0:1]
	;; [unrolled: 1-line block ×3, first 2 shown]
	v_add_f64 v[30:31], v[50:51], -v[30:31]
	v_add_f64 v[22:23], v[46:47], -v[34:35]
	v_mul_f64 v[108:109], v[62:63], s[40:41]
	v_mul_f64 v[110:111], v[62:63], s[16:17]
	v_fma_f64 v[34:35], v[104:105], s[18:19], v[118:119]
	v_fma_f64 v[46:47], v[104:105], s[24:25], v[114:115]
	v_add_f64 v[0:1], v[6:7], v[0:1]
	v_add_f64 v[6:7], v[10:11], v[4:5]
	;; [unrolled: 1-line block ×3, first 2 shown]
	v_mul_f64 v[70:71], v[30:31], s[46:47]
	v_mul_f64 v[66:67], v[30:31], s[44:45]
	v_add_f64 v[14:15], v[36:37], v[48:49]
	v_add_f64 v[10:11], v[42:43], -v[38:39]
	v_mul_f64 v[38:39], v[22:23], s[22:23]
	v_add_f64 v[0:1], v[18:19], v[0:1]
	v_add_f64 v[6:7], v[26:27], v[6:7]
	v_fma_f64 v[18:19], v[58:59], s[26:27], v[108:109]
	v_fma_f64 v[26:27], v[58:59], s[2:3], v[110:111]
	;; [unrolled: 1-line block ×3, first 2 shown]
	v_add_f64 v[4:5], v[40:41], v[44:45]
	v_lshlrev_b32_e32 v76, 3, v142
	v_fma_f64 v[50:51], v[14:15], s[6:7], v[38:39]
	v_add_f64 v[0:1], v[34:35], v[0:1]
	v_add_f64 v[6:7], v[46:47], v[6:7]
	v_mul_f64 v[34:35], v[22:23], s[48:49]
	v_fma_f64 v[46:47], v[54:55], s[34:35], v[66:67]
	v_add3_u32 v141, 0, v143, v76
	v_add_u32_e32 v149, 0, v76
	v_add_u32_e32 v140, v149, v143
	;; [unrolled: 1-line block ×3, first 2 shown]
	v_add_f64 v[0:1], v[18:19], v[0:1]
	v_add_f64 v[6:7], v[26:27], v[6:7]
	v_mul_f64 v[26:27], v[10:11], s[44:45]
	v_mul_f64 v[18:19], v[10:11], s[40:41]
	v_fma_f64 v[74:75], v[14:15], s[10:11], v[34:35]
	s_waitcnt lgkmcnt(0)
	s_barrier
	v_add_f64 v[42:43], v[42:43], v[0:1]
	v_add_f64 v[6:7], v[46:47], v[6:7]
	v_fma_f64 v[46:47], v[4:5], s[34:35], v[26:27]
	v_fma_f64 v[76:77], v[4:5], s[26:27], v[18:19]
	ds_read_b64 v[0:1], v141
	ds_read2_b64 v[78:81], v140 offset0:85 offset1:170
	v_add_u32_e32 v144, 0x800, v140
	v_add_u32_e32 v145, 0x1000, v140
	v_add_f64 v[42:43], v[50:51], v[42:43]
	v_add_f64 v[6:7], v[74:75], v[6:7]
	ds_read2_b64 v[94:97], v147 offset0:127 offset1:212
	ds_read2_b64 v[90:93], v144 offset0:169 offset1:254
	;; [unrolled: 1-line block ×3, first 2 shown]
	v_add_u32_e32 v146, 0x1400, v140
	v_add_u32_e32 v148, 0x1800, v140
	ds_read2_b64 v[86:89], v148 offset0:167 offset1:252
	v_add_f64 v[50:51], v[46:47], v[42:43]
	v_add_f64 v[6:7], v[76:77], v[6:7]
	ds_read2_b64 v[74:77], v146 offset0:125 offset1:210
	s_waitcnt lgkmcnt(0)
	s_barrier
	s_and_saveexec_b64 s[16:17], s[0:1]
	s_cbranch_execz .LBB0_14
; %bb.13:
	v_add_f64 v[42:43], v[72:73], v[20:21]
	s_mov_b32 s36, 0x2a9d6da3
	s_mov_b32 s37, 0xbfe58eea
	v_mul_f64 v[72:73], v[128:129], s[2:3]
	v_mul_f64 v[154:155], v[120:121], s[12:13]
	;; [unrolled: 1-line block ×5, first 2 shown]
	v_add_f64 v[42:43], v[68:69], v[42:43]
	v_mul_f64 v[162:163], v[104:105], s[24:25]
	v_mul_f64 v[166:167], v[58:59], s[2:3]
	;; [unrolled: 1-line block ×3, first 2 shown]
	s_mov_b32 s24, 0x5d8e7cdc
	s_mov_b32 s18, 0x75d4884
	;; [unrolled: 1-line block ×4, first 2 shown]
	v_add_f64 v[170:171], v[64:65], v[42:43]
	s_mov_b32 s40, 0x4363dd80
	v_mul_f64 v[164:165], v[58:59], s[26:27]
	v_mul_f64 v[42:43], v[4:5], s[26:27]
	s_mov_b32 s25, 0xbfd71e95
	s_mov_b32 s19, 0x3fe7a5f6
	;; [unrolled: 1-line block ×4, first 2 shown]
	v_add_f64 v[60:61], v[60:61], v[170:171]
	s_mov_b32 s41, 0xbfe0d888
	s_mov_b32 s27, 0xbfefdd0d
	;; [unrolled: 1-line block ×3, first 2 shown]
	v_mul_f64 v[150:151], v[128:129], s[6:7]
	v_mul_f64 v[152:153], v[120:121], s[10:11]
	v_mul_f64 v[170:171], v[130:131], s[40:41]
	v_mul_f64 v[174:175], v[126:127], s[36:37]
	v_add_f64 v[56:57], v[56:57], v[60:61]
	v_mul_f64 v[60:61], v[130:131], s[12:13]
	v_add_f64 v[72:73], v[72:73], -v[134:135]
	v_add_f64 v[134:135], v[154:155], -v[138:139]
	v_mul_f64 v[68:69], v[14:15], s[6:7]
	s_mov_b32 s6, 0x370991
	s_mov_b32 s0, 0xc61f0d01
	;; [unrolled: 1-line block ×3, first 2 shown]
	v_add_f64 v[52:53], v[52:53], v[56:57]
	v_mul_f64 v[56:57], v[130:131], s[2:3]
	s_mov_b32 s28, 0x7faef3
	s_mov_b32 s22, 0x3259b75e
	;; [unrolled: 1-line block ×6, first 2 shown]
	v_add_f64 v[48:49], v[48:49], v[52:53]
	v_mul_f64 v[52:53], v[130:131], s[36:37]
	s_mov_b32 s23, 0x3fb79ee6
	s_mov_b32 s47, 0x3feec746
	;; [unrolled: 1-line block ×3, first 2 shown]
	v_mul_f64 v[180:181], v[126:127], s[46:47]
	v_fma_f64 v[154:155], v[128:129], s[38:39], v[170:171]
	s_mov_b32 s43, 0x3fd71e95
	v_add_f64 v[44:45], v[44:45], v[48:49]
	v_mul_f64 v[48:49], v[130:131], s[24:25]
	v_mul_f64 v[130:131], v[130:131], s[30:31]
	v_fma_f64 v[138:139], v[128:129], s[18:19], -v[52:53]
	v_fma_f64 v[52:53], v[128:129], s[18:19], v[52:53]
	s_mov_b32 s42, s24
	v_mul_f64 v[172:173], v[54:55], s[34:35]
	v_mul_f64 v[46:47], v[4:5], s[34:35]
	v_add_f64 v[40:41], v[40:41], v[44:45]
	v_mul_f64 v[44:45], v[126:127], s[26:27]
	s_mov_b32 s34, 0x7c9e640b
	s_mov_b32 s35, 0x3feca52d
	v_add_f64 v[52:53], v[20:21], v[52:53]
	v_mul_f64 v[176:177], v[126:127], s[34:35]
	s_mov_b32 s44, 0x2b2883cd
	s_mov_b32 s51, 0x3fe0d888
	v_add_f64 v[36:37], v[36:37], v[40:41]
	v_add_f64 v[40:41], v[150:151], -v[132:133]
	v_add_f64 v[132:133], v[152:153], -v[136:137]
	v_fma_f64 v[136:137], v[128:129], s[6:7], -v[48:49]
	v_fma_f64 v[48:49], v[128:129], s[6:7], v[48:49]
	v_fma_f64 v[150:151], v[128:129], s[10:11], -v[60:61]
	v_fma_f64 v[60:61], v[128:129], s[10:11], v[60:61]
	v_fma_f64 v[152:153], v[128:129], s[38:39], -v[170:171]
	v_add_f64 v[32:33], v[32:33], v[36:37]
	v_fma_f64 v[36:37], v[128:129], s[0:1], -v[56:57]
	v_fma_f64 v[56:57], v[128:129], s[0:1], v[56:57]
	v_fma_f64 v[170:171], v[128:129], s[28:29], -v[130:131]
	v_add_f64 v[40:41], v[20:21], v[40:41]
	v_add_f64 v[48:49], v[20:21], v[48:49]
	;; [unrolled: 1-line block ×3, first 2 shown]
	s_mov_b32 s50, s40
	v_add_f64 v[28:29], v[28:29], v[32:33]
	v_fma_f64 v[32:33], v[128:129], s[28:29], v[130:131]
	v_fma_f64 v[128:129], v[120:121], s[18:19], -v[174:175]
	v_fma_f64 v[130:131], v[120:121], s[18:19], v[174:175]
	v_fma_f64 v[174:175], v[120:121], s[22:23], -v[44:45]
	v_fma_f64 v[44:45], v[120:121], s[22:23], v[44:45]
	v_add_f64 v[36:37], v[20:21], v[36:37]
	s_mov_b32 s45, 0x3fdc86fa
	v_add_f64 v[24:25], v[24:25], v[28:29]
	v_add_f64 v[28:29], v[20:21], v[72:73]
	;; [unrolled: 1-line block ×6, first 2 shown]
	v_fma_f64 v[52:53], v[120:121], s[0:1], -v[180:181]
	v_add_f64 v[152:153], v[20:21], v[170:171]
	v_add_f64 v[16:17], v[16:17], v[24:25]
	;; [unrolled: 1-line block ×6, first 2 shown]
	s_mov_b32 s53, 0xbfeca52d
	s_mov_b32 s52, s34
	v_mul_f64 v[178:179], v[126:127], s[50:51]
	v_add_f64 v[12:13], v[12:13], v[16:17]
	v_add_f64 v[16:17], v[132:133], v[28:29]
	v_add_f64 v[28:29], v[134:135], v[40:41]
	v_add_f64 v[40:41], v[130:131], v[48:49]
	v_add_f64 v[52:53], v[52:53], v[56:57]
	v_mul_f64 v[56:57], v[116:117], s[12:13]
	v_add_f64 v[32:33], v[128:129], v[72:73]
	v_add_f64 v[48:49], v[174:175], v[136:137]
	;; [unrolled: 1-line block ×3, first 2 shown]
	v_mul_f64 v[12:13], v[126:127], s[42:43]
	v_fma_f64 v[72:73], v[120:121], s[0:1], v[180:181]
	v_fma_f64 v[126:127], v[120:121], s[44:45], -v[176:177]
	v_fma_f64 v[128:129], v[120:121], s[44:45], v[176:177]
	v_mul_f64 v[132:133], v[116:117], s[52:53]
	s_mov_b32 s49, 0x3fe58eea
	s_mov_b32 s48, s36
	v_fma_f64 v[182:183], v[120:121], s[38:39], -v[178:179]
	v_fma_f64 v[130:131], v[120:121], s[6:7], -v[12:13]
	v_fma_f64 v[12:13], v[120:121], s[6:7], v[12:13]
	v_fma_f64 v[178:179], v[120:121], s[38:39], v[178:179]
	v_add_f64 v[60:61], v[72:73], v[60:61]
	v_add_f64 v[72:73], v[126:127], v[138:139]
	;; [unrolled: 1-line block ×3, first 2 shown]
	v_fma_f64 v[128:129], v[112:113], s[44:45], -v[132:133]
	v_add_f64 v[122:123], v[156:157], -v[122:123]
	v_add_f64 v[126:127], v[130:131], v[152:153]
	v_add_f64 v[12:13], v[12:13], v[20:21]
	v_fma_f64 v[20:21], v[112:113], s[10:11], -v[56:57]
	v_fma_f64 v[130:131], v[112:113], s[44:45], v[132:133]
	v_mul_f64 v[132:133], v[116:117], s[48:49]
	v_add_f64 v[36:37], v[182:183], v[36:37]
	v_fma_f64 v[56:57], v[112:113], s[10:11], v[56:57]
	v_add_f64 v[32:33], v[128:129], v[32:33]
	v_add_f64 v[16:17], v[122:123], v[16:17]
	;; [unrolled: 1-line block ×4, first 2 shown]
	v_mul_f64 v[48:49], v[116:117], s[24:25]
	v_add_f64 v[40:41], v[130:131], v[40:41]
	v_fma_f64 v[128:129], v[112:113], s[18:19], -v[132:133]
	v_mul_f64 v[130:131], v[116:117], s[26:27]
	v_mul_f64 v[116:117], v[116:117], s[40:41]
	v_add_f64 v[124:125], v[158:159], -v[124:125]
	v_add_f64 v[44:45], v[56:57], v[44:45]
	v_fma_f64 v[56:57], v[112:113], s[18:19], v[132:133]
	v_fma_f64 v[122:123], v[112:113], s[6:7], -v[48:49]
	v_fma_f64 v[48:49], v[112:113], s[6:7], v[48:49]
	v_add_f64 v[36:37], v[128:129], v[36:37]
	v_mul_f64 v[128:129], v[106:107], s[26:27]
	v_add_f64 v[114:115], v[162:163], -v[114:115]
	v_add_f64 v[28:29], v[124:125], v[28:29]
	v_fma_f64 v[124:125], v[112:113], s[22:23], v[130:131]
	v_add_f64 v[24:25], v[56:57], v[24:25]
	v_fma_f64 v[56:57], v[112:113], s[22:23], -v[130:131]
	v_add_f64 v[48:49], v[48:49], v[60:61]
	v_fma_f64 v[60:61], v[112:113], s[38:39], v[116:117]
	v_fma_f64 v[130:131], v[112:113], s[38:39], -v[116:117]
	v_add_f64 v[52:53], v[122:123], v[52:53]
	v_mul_f64 v[122:123], v[106:107], s[30:31]
	v_fma_f64 v[112:113], v[104:105], s[22:23], -v[128:129]
	v_add_f64 v[28:29], v[114:115], v[28:29]
	v_add_f64 v[56:57], v[56:57], v[72:73]
	;; [unrolled: 1-line block ×4, first 2 shown]
	v_add_f64 v[60:61], v[160:161], -v[118:119]
	v_mul_f64 v[118:119], v[106:107], s[52:53]
	v_fma_f64 v[120:121], v[104:105], s[22:23], v[128:129]
	v_fma_f64 v[124:125], v[104:105], s[28:29], -v[122:123]
	v_fma_f64 v[122:123], v[104:105], s[28:29], v[122:123]
	v_add_f64 v[32:33], v[112:113], v[32:33]
	v_mul_f64 v[112:113], v[106:107], s[40:41]
	s_mov_b32 s53, 0x3fe9895b
	v_add_f64 v[16:17], v[60:61], v[16:17]
	v_fma_f64 v[60:61], v[104:105], s[44:45], -v[118:119]
	s_mov_b32 s52, s12
	v_add_f64 v[40:41], v[120:121], v[40:41]
	v_add_f64 v[44:45], v[122:123], v[44:45]
	v_fma_f64 v[118:119], v[104:105], s[44:45], v[118:119]
	v_fma_f64 v[120:121], v[104:105], s[38:39], -v[112:113]
	v_mul_f64 v[122:123], v[106:107], s[52:53]
	v_mul_f64 v[106:107], v[106:107], s[48:49]
	v_add_f64 v[36:37], v[60:61], v[36:37]
	v_mul_f64 v[60:61], v[62:63], s[2:3]
	v_fma_f64 v[112:113], v[104:105], s[38:39], v[112:113]
	v_add_f64 v[20:21], v[124:125], v[20:21]
	v_add_f64 v[24:25], v[118:119], v[24:25]
	;; [unrolled: 1-line block ×3, first 2 shown]
	v_fma_f64 v[114:115], v[104:105], s[10:11], -v[122:123]
	v_fma_f64 v[118:119], v[104:105], s[10:11], v[122:123]
	v_fma_f64 v[120:121], v[104:105], s[18:19], -v[106:107]
	v_fma_f64 v[104:105], v[104:105], s[18:19], v[106:107]
	v_fma_f64 v[106:107], v[58:59], s[0:1], -v[60:61]
	v_mul_f64 v[122:123], v[62:63], s[50:51]
	v_fma_f64 v[60:61], v[58:59], s[0:1], v[60:61]
	s_mov_b32 s27, 0x3fefdd0d
	v_add_f64 v[56:57], v[114:115], v[56:57]
	v_add_f64 v[108:109], v[164:165], -v[108:109]
	v_mul_f64 v[114:115], v[62:63], s[26:27]
	v_add_f64 v[12:13], v[104:105], v[12:13]
	v_add_f64 v[32:33], v[106:107], v[32:33]
	v_fma_f64 v[104:105], v[58:59], s[38:39], -v[122:123]
	v_mul_f64 v[106:107], v[62:63], s[30:31]
	v_add_f64 v[40:41], v[60:61], v[40:41]
	v_fma_f64 v[60:61], v[58:59], s[38:39], v[122:123]
	v_add_f64 v[110:111], v[166:167], -v[110:111]
	v_add_f64 v[16:17], v[108:109], v[16:17]
	v_fma_f64 v[108:109], v[58:59], s[22:23], -v[114:115]
	v_add_f64 v[72:73], v[118:119], v[72:73]
	v_add_f64 v[20:21], v[104:105], v[20:21]
	v_fma_f64 v[104:105], v[58:59], s[28:29], -v[106:107]
	v_fma_f64 v[106:107], v[58:59], s[28:29], v[106:107]
	v_add_f64 v[44:45], v[60:61], v[44:45]
	v_mul_f64 v[60:61], v[62:63], s[24:25]
	v_mul_f64 v[62:63], v[62:63], s[12:13]
	v_add_f64 v[28:29], v[110:111], v[28:29]
	v_add_f64 v[52:53], v[108:109], v[52:53]
	v_add_f64 v[48:49], v[112:113], v[48:49]
	v_add_f64 v[36:37], v[104:105], v[36:37]
	v_add_f64 v[24:25], v[106:107], v[24:25]
	v_mul_f64 v[106:107], v[30:31], s[12:13]
	v_fma_f64 v[104:105], v[58:59], s[22:23], v[114:115]
	v_fma_f64 v[110:111], v[58:59], s[6:7], -v[60:61]
	v_fma_f64 v[60:61], v[58:59], s[6:7], v[60:61]
	v_fma_f64 v[108:109], v[58:59], s[10:11], -v[62:63]
	v_mul_f64 v[114:115], v[30:31], s[46:47]
	v_fma_f64 v[58:59], v[58:59], s[10:11], v[62:63]
	v_add_f64 v[70:71], v[168:169], -v[70:71]
	v_fma_f64 v[62:63], v[54:55], s[10:11], -v[106:107]
	v_add_f64 v[66:67], v[172:173], -v[66:67]
	v_add_f64 v[48:49], v[104:105], v[48:49]
	v_add_f64 v[60:61], v[60:61], v[72:73]
	v_fma_f64 v[72:73], v[54:55], s[10:11], v[106:107]
	v_fma_f64 v[106:107], v[54:55], s[0:1], -v[114:115]
	v_add_f64 v[12:13], v[58:59], v[12:13]
	v_mul_f64 v[58:59], v[30:31], s[26:27]
	v_add_f64 v[32:33], v[62:63], v[32:33]
	v_fma_f64 v[62:63], v[54:55], s[0:1], v[114:115]
	v_add_f64 v[16:17], v[70:71], v[16:17]
	v_add_f64 v[28:29], v[66:67], v[28:29]
	;; [unrolled: 1-line block ×4, first 2 shown]
	v_mul_f64 v[72:73], v[30:31], s[36:37]
	v_fma_f64 v[106:107], v[54:55], s[22:23], -v[58:59]
	v_fma_f64 v[58:59], v[54:55], s[22:23], v[58:59]
	v_add_f64 v[44:45], v[62:63], v[44:45]
	v_mul_f64 v[62:63], v[30:31], s[30:31]
	v_mul_f64 v[30:31], v[30:31], s[34:35]
	;; [unrolled: 1-line block ×4, first 2 shown]
	v_fma_f64 v[66:67], v[54:55], s[18:19], -v[72:73]
	v_add_f64 v[36:37], v[106:107], v[36:37]
	v_add_f64 v[24:25], v[58:59], v[24:25]
	v_fma_f64 v[58:59], v[54:55], s[18:19], v[72:73]
	v_fma_f64 v[72:73], v[54:55], s[28:29], -v[62:63]
	v_fma_f64 v[62:63], v[54:55], s[28:29], v[62:63]
	v_fma_f64 v[106:107], v[54:55], s[44:45], -v[30:31]
	v_fma_f64 v[30:31], v[54:55], s[44:45], v[30:31]
	v_mul_f64 v[54:55], v[22:23], s[34:35]
	v_add_f64 v[52:53], v[66:67], v[52:53]
	v_fma_f64 v[66:67], v[14:15], s[38:39], v[70:71]
	v_add_f64 v[48:49], v[58:59], v[48:49]
	v_fma_f64 v[58:59], v[14:15], s[38:39], -v[70:71]
	v_mul_f64 v[70:71], v[22:23], s[24:25]
	v_add_f64 v[38:39], v[68:69], -v[38:39]
	v_add_f64 v[12:13], v[30:31], v[12:13]
	v_fma_f64 v[30:31], v[14:15], s[44:45], -v[54:55]
	v_fma_f64 v[54:55], v[14:15], s[44:45], v[54:55]
	v_add_f64 v[34:35], v[64:65], -v[34:35]
	v_add_f64 v[116:117], v[130:131], v[126:127]
	v_add_f64 v[32:33], v[58:59], v[32:33]
	v_mul_f64 v[58:59], v[22:23], s[30:31]
	v_add_f64 v[16:17], v[38:39], v[16:17]
	v_fma_f64 v[64:65], v[14:15], s[6:7], v[70:71]
	v_add_f64 v[20:21], v[30:31], v[20:21]
	v_fma_f64 v[30:31], v[14:15], s[6:7], -v[70:71]
	v_add_f64 v[44:45], v[54:55], v[44:45]
	v_mul_f64 v[54:55], v[22:23], s[48:49]
	v_add_f64 v[28:29], v[34:35], v[28:29]
	v_fma_f64 v[38:39], v[14:15], s[28:29], -v[58:59]
	v_mul_f64 v[22:23], v[22:23], s[2:3]
	v_fma_f64 v[34:35], v[14:15], s[28:29], v[58:59]
	v_add_f64 v[112:113], v[120:121], v[116:117]
	v_add_f64 v[30:31], v[30:31], v[36:37]
	v_mul_f64 v[36:37], v[10:11], s[30:31]
	v_add_f64 v[56:57], v[110:111], v[56:57]
	v_add_f64 v[40:41], v[66:67], v[40:41]
	v_add_f64 v[38:39], v[38:39], v[52:53]
	v_fma_f64 v[52:53], v[14:15], s[18:19], -v[54:55]
	v_fma_f64 v[54:55], v[14:15], s[18:19], v[54:55]
	v_fma_f64 v[58:59], v[14:15], s[0:1], -v[22:23]
	v_fma_f64 v[14:15], v[14:15], s[0:1], v[22:23]
	v_add_f64 v[22:23], v[34:35], v[48:49]
	v_fma_f64 v[34:35], v[4:5], s[28:29], -v[36:37]
	v_fma_f64 v[36:37], v[4:5], s[28:29], v[36:37]
	v_add_f64 v[24:25], v[64:65], v[24:25]
	v_mul_f64 v[64:65], v[10:11], s[42:43]
	v_add_f64 v[104:105], v[108:109], v[112:113]
	v_add_f64 v[56:57], v[72:73], v[56:57]
	v_add_f64 v[26:27], v[46:47], -v[26:27]
	v_add_f64 v[12:13], v[14:15], v[12:13]
	v_add_f64 v[32:33], v[34:35], v[32:33]
	;; [unrolled: 1-line block ×3, first 2 shown]
	v_mul_f64 v[36:37], v[10:11], s[12:13]
	v_fma_f64 v[14:15], v[4:5], s[6:7], v[64:65]
	v_add_f64 v[18:19], v[42:43], -v[18:19]
	v_mul_f64 v[40:41], v[10:11], s[34:35]
	v_mul_f64 v[42:43], v[10:11], s[2:3]
	v_add_f64 v[60:61], v[62:63], v[60:61]
	v_add_f64 v[62:63], v[106:107], v[104:105]
	v_mul_f64 v[10:11], v[10:11], s[26:27]
	v_add_f64 v[48:49], v[52:53], v[56:57]
	v_fma_f64 v[56:57], v[4:5], s[6:7], -v[64:65]
	v_add_f64 v[16:17], v[26:27], v[16:17]
	v_fma_f64 v[26:27], v[4:5], s[10:11], -v[36:37]
	v_add_f64 v[14:15], v[14:15], v[44:45]
	v_add_f64 v[18:19], v[18:19], v[28:29]
	v_fma_f64 v[28:29], v[4:5], s[10:11], v[36:37]
	v_fma_f64 v[36:37], v[4:5], s[44:45], -v[40:41]
	v_fma_f64 v[44:45], v[4:5], s[0:1], -v[42:43]
	v_add_f64 v[52:53], v[54:55], v[60:61]
	v_add_f64 v[54:55], v[58:59], v[62:63]
	v_fma_f64 v[46:47], v[4:5], s[22:23], -v[10:11]
	v_fma_f64 v[10:11], v[4:5], s[22:23], v[10:11]
	v_fma_f64 v[40:41], v[4:5], s[44:45], v[40:41]
	v_fma_f64 v[4:5], v[4:5], s[0:1], v[42:43]
	v_add_f64 v[20:21], v[56:57], v[20:21]
	v_add_f64 v[26:27], v[26:27], v[30:31]
	;; [unrolled: 1-line block ×9, first 2 shown]
	v_lshlrev_b32_e32 v12, 7, v142
	v_add3_u32 v12, v149, v12, v143
	ds_write2_b64 v12, v[8:9], v[32:33] offset1:1
	ds_write2_b64 v12, v[20:21], v[16:17] offset0:2 offset1:3
	ds_write2_b64 v12, v[18:19], v[26:27] offset0:4 offset1:5
	;; [unrolled: 1-line block ×7, first 2 shown]
	ds_write_b64 v12, v[34:35] offset:128
.LBB0_14:
	s_or_b64 exec, exec, s[16:17]
	s_movk_i32 s0, 0xf1
	v_mul_lo_u16_sdwa v4, v142, s0 dst_sel:DWORD dst_unused:UNUSED_PAD src0_sel:BYTE_0 src1_sel:DWORD
	v_lshrrev_b16_e32 v16, 12, v4
	v_mul_lo_u16_e32 v4, 17, v16
	v_sub_u16_e32 v17, v142, v4
	v_mov_b32_e32 v4, 12
	v_mul_u32_u24_sdwa v4, v17, v4 dst_sel:DWORD dst_unused:UNUSED_PAD src0_sel:BYTE_0 src1_sel:DWORD
	v_lshlrev_b32_e32 v4, 4, v4
	s_load_dwordx2 s[2:3], s[4:5], 0x0
	s_waitcnt lgkmcnt(0)
	s_barrier
	global_load_dwordx4 v[8:11], v4, s[8:9]
	global_load_dwordx4 v[12:15], v4, s[8:9] offset:16
	global_load_dwordx4 v[18:21], v4, s[8:9] offset:32
	;; [unrolled: 1-line block ×11, first 2 shown]
	ds_read_b64 v[4:5], v141
	ds_read2_b64 v[38:41], v140 offset0:85 offset1:170
	ds_read2_b64 v[46:49], v147 offset0:127 offset1:212
	;; [unrolled: 1-line block ×6, first 2 shown]
	s_mov_b32 s6, 0x4267c47c
	s_mov_b32 s4, 0x42a4c3d2
	;; [unrolled: 1-line block ×36, first 2 shown]
	s_movk_i32 s0, 0x6e8
	v_mad_u32_u24 v16, v16, s0, 0
	s_waitcnt vmcnt(0) lgkmcnt(0)
	s_barrier
	v_cmp_gt_u32_e64 s[0:1], 51, v142
	v_mul_f64 v[64:65], v[38:39], v[10:11]
	v_mul_f64 v[10:11], v[78:79], v[10:11]
	;; [unrolled: 1-line block ×8, first 2 shown]
	v_fma_f64 v[78:79], v[78:79], v[8:9], v[64:65]
	v_mul_f64 v[136:137], v[114:115], v[54:55]
	v_mul_f64 v[138:139], v[74:75], v[54:55]
	v_mul_f64 v[153:154], v[120:121], v[72:73]
	v_mul_f64 v[54:55], v[88:89], v[72:73]
	v_fma_f64 v[104:105], v[38:39], v[8:9], -v[10:11]
	v_fma_f64 v[72:73], v[80:81], v[12:13], v[66:67]
	v_fma_f64 v[68:69], v[94:95], v[18:19], v[68:69]
	v_add_f64 v[8:9], v[0:1], v[78:79]
	v_mul_f64 v[134:135], v[84:85], v[44:45]
	v_mul_f64 v[147:148], v[116:117], v[58:59]
	;; [unrolled: 1-line block ×5, first 2 shown]
	v_fma_f64 v[44:45], v[96:97], v[22:23], v[122:123]
	v_fma_f64 v[58:59], v[120:121], v[70:71], -v[54:55]
	v_add_f64 v[8:9], v[8:9], v[72:73]
	v_mul_f64 v[20:21], v[94:95], v[20:21]
	v_mul_f64 v[24:25], v[96:97], v[24:25]
	;; [unrolled: 1-line block ×7, first 2 shown]
	v_add_f64 v[8:9], v[8:9], v[68:69]
	v_fma_f64 v[66:67], v[40:41], v[12:13], -v[14:15]
	v_fma_f64 v[36:37], v[90:91], v[26:27], v[124:125]
	v_fma_f64 v[54:55], v[74:75], v[52:53], v[136:137]
	v_fma_f64 v[80:81], v[88:89], v[70:71], v[153:154]
	v_fma_f64 v[74:75], v[86:87], v[60:61], v[151:152]
	v_fma_f64 v[60:61], v[118:119], v[60:61], -v[62:63]
	v_add_f64 v[10:11], v[104:105], -v[58:59]
	v_add_f64 v[8:9], v[8:9], v[44:45]
	v_fma_f64 v[64:65], v[46:47], v[18:19], -v[20:21]
	v_fma_f64 v[46:47], v[48:49], v[22:23], -v[24:25]
	v_fma_f64 v[40:41], v[106:107], v[26:27], -v[28:29]
	v_fma_f64 v[12:13], v[92:93], v[30:31], v[126:127]
	v_fma_f64 v[32:33], v[108:109], v[30:31], -v[32:33]
	v_fma_f64 v[70:71], v[76:77], v[56:57], v[147:148]
	v_fma_f64 v[62:63], v[116:117], v[56:57], -v[149:150]
	v_fma_f64 v[56:57], v[114:115], v[52:53], -v[138:139]
	v_add_f64 v[18:19], v[78:79], v[80:81]
	v_add_f64 v[22:23], v[66:67], -v[60:61]
	v_mul_f64 v[28:29], v[10:11], s[6:7]
	v_mul_f64 v[30:31], v[10:11], s[4:5]
	v_mul_f64 v[48:49], v[10:11], s[10:11]
	v_mul_f64 v[52:53], v[10:11], s[16:17]
	v_mul_f64 v[76:77], v[10:11], s[26:27]
	v_mul_f64 v[10:11], v[10:11], s[30:31]
	v_add_f64 v[8:9], v[8:9], v[36:37]
	v_fma_f64 v[14:15], v[82:83], v[34:35], v[128:129]
	v_fma_f64 v[34:35], v[110:111], v[34:35], -v[130:131]
	v_fma_f64 v[38:39], v[84:85], v[42:43], v[132:133]
	v_fma_f64 v[42:43], v[112:113], v[42:43], -v[134:135]
	v_add_f64 v[20:21], v[72:73], v[74:75]
	v_add_f64 v[26:27], v[64:65], -v[62:63]
	v_mul_f64 v[82:83], v[22:23], s[4:5]
	v_mul_f64 v[84:85], v[22:23], s[16:17]
	;; [unrolled: 1-line block ×6, first 2 shown]
	v_fma_f64 v[106:107], v[18:19], s[18:19], v[28:29]
	v_fma_f64 v[28:29], v[18:19], s[18:19], -v[28:29]
	v_fma_f64 v[108:109], v[18:19], s[12:13], v[30:31]
	v_fma_f64 v[30:31], v[18:19], s[12:13], -v[30:31]
	;; [unrolled: 2-line block ×3, first 2 shown]
	v_add_f64 v[8:9], v[8:9], v[12:13]
	v_fma_f64 v[112:113], v[18:19], s[24:25], v[52:53]
	v_fma_f64 v[52:53], v[18:19], s[24:25], -v[52:53]
	v_fma_f64 v[114:115], v[18:19], s[28:29], v[76:77]
	v_fma_f64 v[76:77], v[18:19], s[28:29], -v[76:77]
	v_fma_f64 v[116:117], v[18:19], s[38:39], v[10:11]
	v_fma_f64 v[10:11], v[18:19], s[38:39], -v[10:11]
	v_add_f64 v[24:25], v[68:69], v[70:71]
	v_mul_f64 v[92:93], v[26:27], s[10:11]
	v_mul_f64 v[94:95], v[26:27], s[30:31]
	v_fma_f64 v[18:19], v[20:21], s[12:13], v[82:83]
	v_add_f64 v[8:9], v[8:9], v[14:15]
	v_fma_f64 v[82:83], v[20:21], s[12:13], -v[82:83]
	v_fma_f64 v[118:119], v[20:21], s[24:25], v[84:85]
	v_fma_f64 v[84:85], v[20:21], s[24:25], -v[84:85]
	v_fma_f64 v[120:121], v[20:21], s[38:39], v[86:87]
	v_fma_f64 v[86:87], v[20:21], s[38:39], -v[86:87]
	v_fma_f64 v[122:123], v[20:21], s[28:29], v[88:89]
	v_fma_f64 v[88:89], v[20:21], s[28:29], -v[88:89]
	v_fma_f64 v[124:125], v[20:21], s[22:23], v[90:91]
	v_fma_f64 v[90:91], v[20:21], s[22:23], -v[90:91]
	v_fma_f64 v[126:127], v[20:21], s[18:19], v[22:23]
	v_fma_f64 v[20:21], v[20:21], s[18:19], -v[22:23]
	v_add_f64 v[106:107], v[0:1], v[106:107]
	v_add_f64 v[28:29], v[0:1], v[28:29]
	;; [unrolled: 1-line block ×12, first 2 shown]
	v_mul_f64 v[96:97], v[26:27], s[40:41]
	v_add_f64 v[8:9], v[8:9], v[38:39]
	v_fma_f64 v[22:23], v[24:25], s[22:23], v[92:93]
	v_fma_f64 v[92:93], v[24:25], s[22:23], -v[92:93]
	v_add_f64 v[10:11], v[18:19], v[106:107]
	v_add_f64 v[18:19], v[82:83], v[28:29]
	;; [unrolled: 1-line block ×5, first 2 shown]
	v_mul_f64 v[20:21], v[26:27], s[42:43]
	v_fma_f64 v[90:91], v[24:25], s[38:39], v[94:95]
	v_add_f64 v[8:9], v[8:9], v[54:55]
	v_add_f64 v[30:31], v[84:85], v[30:31]
	;; [unrolled: 1-line block ×5, first 2 shown]
	v_fma_f64 v[94:95], v[24:25], s[38:39], -v[94:95]
	v_add_f64 v[10:11], v[22:23], v[10:11]
	v_add_f64 v[18:19], v[92:93], v[18:19]
	v_fma_f64 v[22:23], v[24:25], s[24:25], v[96:97]
	v_fma_f64 v[92:93], v[24:25], s[24:25], -v[96:97]
	v_mul_f64 v[96:97], v[26:27], s[4:5]
	v_fma_f64 v[106:107], v[24:25], s[18:19], v[20:21]
	v_add_f64 v[28:29], v[90:91], v[28:29]
	v_add_f64 v[90:91], v[46:47], -v[56:57]
	v_fma_f64 v[20:21], v[24:25], s[18:19], -v[20:21]
	v_add_f64 v[84:85], v[122:123], v[112:113]
	v_mul_f64 v[26:27], v[26:27], s[26:27]
	v_add_f64 v[8:9], v[8:9], v[70:71]
	v_add_f64 v[86:87], v[124:125], v[114:115]
	;; [unrolled: 1-line block ×5, first 2 shown]
	v_fma_f64 v[82:83], v[24:25], s[12:13], v[96:97]
	v_add_f64 v[92:93], v[44:45], v[54:55]
	v_mul_f64 v[94:95], v[90:91], s[16:17]
	v_add_f64 v[20:21], v[20:21], v[52:53]
	v_fma_f64 v[52:53], v[24:25], s[12:13], -v[96:97]
	v_mul_f64 v[96:97], v[90:91], s[34:35]
	v_add_f64 v[84:85], v[106:107], v[84:85]
	v_fma_f64 v[106:107], v[24:25], s[28:29], v[26:27]
	v_fma_f64 v[24:25], v[24:25], s[28:29], -v[26:27]
	v_add_f64 v[8:9], v[8:9], v[74:75]
	v_add_f64 v[82:83], v[82:83], v[86:87]
	v_mul_f64 v[86:87], v[90:91], s[42:43]
	v_fma_f64 v[26:27], v[92:93], s[24:25], v[94:95]
	v_fma_f64 v[94:95], v[92:93], s[24:25], -v[94:95]
	v_add_f64 v[52:53], v[52:53], v[76:77]
	v_fma_f64 v[76:77], v[92:93], s[28:29], v[96:97]
	v_fma_f64 v[96:97], v[92:93], s[28:29], -v[96:97]
	v_add_f64 v[0:1], v[24:25], v[0:1]
	v_mul_f64 v[24:25], v[90:91], s[10:11]
	v_add_f64 v[88:89], v[8:9], v[80:81]
	v_add_f64 v[8:9], v[126:127], v[116:117]
	;; [unrolled: 1-line block ×6, first 2 shown]
	v_fma_f64 v[30:31], v[92:93], s[18:19], -v[86:87]
	v_mul_f64 v[76:77], v[90:91], s[46:47]
	v_add_f64 v[94:95], v[40:41], -v[42:43]
	v_fma_f64 v[108:109], v[92:93], s[18:19], v[86:87]
	v_fma_f64 v[86:87], v[92:93], s[22:23], v[24:25]
	v_fma_f64 v[24:25], v[92:93], s[22:23], -v[24:25]
	v_mul_f64 v[90:91], v[90:91], s[44:45]
	v_add_f64 v[8:9], v[106:107], v[8:9]
	v_add_f64 v[30:31], v[30:31], v[48:49]
	v_fma_f64 v[48:49], v[92:93], s[38:39], v[76:77]
	v_add_f64 v[96:97], v[36:37], v[38:39]
	v_mul_f64 v[106:107], v[94:95], s[26:27]
	v_add_f64 v[84:85], v[86:87], v[84:85]
	v_fma_f64 v[76:77], v[92:93], s[38:39], -v[76:77]
	v_add_f64 v[20:21], v[24:25], v[20:21]
	v_fma_f64 v[24:25], v[92:93], s[12:13], v[90:91]
	v_mul_f64 v[86:87], v[94:95], s[36:37]
	v_fma_f64 v[90:91], v[92:93], s[12:13], -v[90:91]
	v_add_f64 v[48:49], v[48:49], v[82:83]
	v_fma_f64 v[82:83], v[96:97], s[28:29], v[106:107]
	v_mul_f64 v[92:93], v[94:95], s[4:5]
	v_add_f64 v[52:53], v[76:77], v[52:53]
	v_fma_f64 v[76:77], v[96:97], s[28:29], -v[106:107]
	v_add_f64 v[8:9], v[24:25], v[8:9]
	v_fma_f64 v[24:25], v[96:97], s[22:23], v[86:87]
	v_fma_f64 v[86:87], v[96:97], s[22:23], -v[86:87]
	v_add_f64 v[22:23], v[108:109], v[22:23]
	v_add_f64 v[0:1], v[90:91], v[0:1]
	;; [unrolled: 1-line block ×3, first 2 shown]
	v_fma_f64 v[82:83], v[96:97], s[12:13], v[92:93]
	v_mul_f64 v[90:91], v[94:95], s[46:47]
	v_add_f64 v[18:19], v[76:77], v[18:19]
	v_fma_f64 v[76:77], v[96:97], s[12:13], -v[92:93]
	v_add_f64 v[24:25], v[24:25], v[26:27]
	v_mul_f64 v[26:27], v[94:95], s[42:43]
	v_add_f64 v[28:29], v[86:87], v[28:29]
	v_add_f64 v[86:87], v[32:33], -v[34:35]
	v_add_f64 v[22:23], v[82:83], v[22:23]
	v_fma_f64 v[82:83], v[96:97], s[38:39], v[90:91]
	v_mul_f64 v[92:93], v[94:95], s[16:17]
	v_add_f64 v[30:31], v[76:77], v[30:31]
	v_fma_f64 v[76:77], v[96:97], s[38:39], -v[90:91]
	v_fma_f64 v[90:91], v[96:97], s[18:19], v[26:27]
	v_add_f64 v[94:95], v[12:13], v[14:15]
	v_mul_f64 v[106:107], v[86:87], s[30:31]
	v_fma_f64 v[26:27], v[96:97], s[18:19], -v[26:27]
	v_add_f64 v[82:83], v[82:83], v[84:85]
	v_fma_f64 v[84:85], v[96:97], s[24:25], v[92:93]
	v_mul_f64 v[108:109], v[86:87], s[42:43]
	v_fma_f64 v[92:93], v[96:97], s[24:25], -v[92:93]
	v_add_f64 v[20:21], v[76:77], v[20:21]
	v_add_f64 v[48:49], v[90:91], v[48:49]
	v_fma_f64 v[76:77], v[94:95], s[38:39], v[106:107]
	v_add_f64 v[26:27], v[26:27], v[52:53]
	v_fma_f64 v[52:53], v[94:95], s[38:39], -v[106:107]
	v_add_f64 v[84:85], v[84:85], v[8:9]
	v_fma_f64 v[8:9], v[94:95], s[18:19], v[108:109]
	v_add_f64 v[90:91], v[92:93], v[0:1]
	v_fma_f64 v[92:93], v[94:95], s[18:19], -v[108:109]
	v_mul_f64 v[96:97], v[86:87], s[26:27]
	v_add_f64 v[106:107], v[76:77], v[10:11]
	v_mul_f64 v[76:77], v[86:87], s[44:45]
	v_add_f64 v[0:1], v[52:53], v[18:19]
	;; [unrolled: 2-line block ×4, first 2 shown]
	v_fma_f64 v[28:29], v[94:95], s[28:29], v[96:97]
	v_fma_f64 v[52:53], v[94:95], s[28:29], -v[96:97]
	v_fma_f64 v[86:87], v[94:95], s[12:13], v[76:77]
	v_fma_f64 v[76:77], v[94:95], s[12:13], -v[76:77]
	;; [unrolled: 2-line block ×4, first 2 shown]
	v_add_f64 v[22:23], v[28:29], v[22:23]
	v_add_f64 v[8:9], v[52:53], v[30:31]
	;; [unrolled: 1-line block ×8, first 2 shown]
	v_mov_b32_e32 v52, 3
	v_lshlrev_b32_sdwa v17, v52, v17 dst_sel:DWORD dst_unused:UNUSED_PAD src0_sel:DWORD src1_sel:BYTE_0
	v_add3_u32 v76, v16, v17, v143
	ds_write2_b64 v76, v[88:89], v[106:107] offset1:17
	ds_write2_b64 v76, v[24:25], v[22:23] offset0:34 offset1:51
	ds_write2_b64 v76, v[28:29], v[30:31] offset0:68 offset1:85
	;; [unrolled: 1-line block ×5, first 2 shown]
	ds_write_b64 v76, v[0:1] offset:1632
	s_waitcnt lgkmcnt(0)
	s_barrier
	ds_read2_b64 v[16:19], v140 offset0:85 offset1:221
	ds_read2_b64 v[24:27], v144 offset0:50 offset1:186
	;; [unrolled: 1-line block ×4, first 2 shown]
	ds_read_b64 v[48:49], v141
	ds_read_b64 v[52:53], v140 offset:7752
	s_and_saveexec_b64 s[48:49], s[0:1]
	s_cbranch_execz .LBB0_16
; %bb.15:
	v_add_u32_e32 v0, 0x500, v140
	ds_read2_b64 v[8:11], v0 offset0:10 offset1:231
	v_add_u32_e32 v0, 0x1300, v140
	ds_read2_b64 v[0:3], v0 offset0:4 offset1:225
	ds_read_b64 v[102:103], v140 offset:8432
.LBB0_16:
	s_or_b64 exec, exec, s[48:49]
	v_add_f64 v[82:83], v[4:5], v[104:105]
	v_add_f64 v[77:78], v[78:79], -v[80:81]
	v_add_f64 v[79:80], v[66:67], v[60:61]
	v_add_f64 v[72:73], v[72:73], -v[74:75]
	v_add_f64 v[74:75], v[64:65], v[62:63]
	v_add_f64 v[84:85], v[104:105], v[58:59]
	v_add_f64 v[68:69], v[68:69], -v[70:71]
	v_add_f64 v[44:45], v[44:45], -v[54:55]
	v_add_f64 v[66:67], v[82:83], v[66:67]
	v_add_f64 v[36:37], v[36:37], -v[38:39]
	v_mul_f64 v[92:93], v[79:80], s[12:13]
	v_mul_f64 v[94:95], v[79:80], s[24:25]
	;; [unrolled: 1-line block ×6, first 2 shown]
	v_add_f64 v[64:65], v[66:67], v[64:65]
	v_mul_f64 v[88:89], v[84:85], s[24:25]
	v_mul_f64 v[90:91], v[84:85], s[28:29]
	;; [unrolled: 1-line block ×4, first 2 shown]
	v_fma_f64 v[114:115], v[77:78], s[42:43], v[70:71]
	v_fma_f64 v[116:117], v[77:78], s[44:45], v[81:82]
	;; [unrolled: 1-line block ×3, first 2 shown]
	v_add_f64 v[64:65], v[64:65], v[46:47]
	v_mul_f64 v[104:105], v[79:80], s[22:23]
	v_mul_f64 v[79:80], v[79:80], s[18:19]
	;; [unrolled: 1-line block ×4, first 2 shown]
	v_fma_f64 v[70:71], v[77:78], s[6:7], v[70:71]
	v_fma_f64 v[81:82], v[77:78], s[4:5], v[81:82]
	;; [unrolled: 1-line block ×3, first 2 shown]
	v_add_f64 v[64:65], v[64:65], v[40:41]
	v_fma_f64 v[120:121], v[77:78], s[40:41], v[88:89]
	v_fma_f64 v[87:88], v[77:78], s[16:17], v[88:89]
	;; [unrolled: 1-line block ×7, first 2 shown]
	v_add_f64 v[64:65], v[64:65], v[32:33]
	v_fma_f64 v[126:127], v[72:73], s[40:41], v[94:95]
	v_fma_f64 v[128:129], v[72:73], s[46:47], v[66:67]
	v_add_f64 v[114:115], v[4:5], v[114:115]
	v_add_f64 v[116:117], v[4:5], v[116:117]
	;; [unrolled: 1-line block ×3, first 2 shown]
	v_mul_f64 v[106:107], v[74:75], s[22:23]
	v_mul_f64 v[112:113], v[74:75], s[18:19]
	v_add_f64 v[64:65], v[64:65], v[34:35]
	v_fma_f64 v[91:92], v[72:73], s[4:5], v[92:93]
	v_fma_f64 v[93:94], v[72:73], s[16:17], v[94:95]
	v_fma_f64 v[66:67], v[72:73], s[30:31], v[66:67]
	v_fma_f64 v[130:131], v[72:73], s[26:27], v[96:97]
	v_fma_f64 v[95:96], v[72:73], s[34:35], v[96:97]
	v_fma_f64 v[132:133], v[72:73], s[10:11], v[104:105]
	v_fma_f64 v[104:105], v[72:73], s[36:37], v[104:105]
	v_add_f64 v[64:65], v[64:65], v[42:43]
	v_fma_f64 v[134:135], v[72:73], s[6:7], v[79:80]
	v_fma_f64 v[72:73], v[72:73], s[42:43], v[79:80]
	v_fma_f64 v[136:137], v[68:69], s[46:47], v[108:109]
	v_fma_f64 v[138:139], v[68:69], s[16:17], v[110:111]
	v_add_f64 v[70:71], v[4:5], v[70:71]
	v_add_f64 v[81:82], v[4:5], v[81:82]
	;; [unrolled: 1-line block ×14, first 2 shown]
	v_fma_f64 v[79:80], v[68:69], s[36:37], v[106:107]
	v_fma_f64 v[108:109], v[68:69], s[30:31], v[108:109]
	v_add_f64 v[81:82], v[93:94], v[81:82]
	v_add_f64 v[66:67], v[66:67], v[85:86]
	;; [unrolled: 1-line block ×6, first 2 shown]
	v_mul_f64 v[77:78], v[74:75], s[12:13]
	v_add_f64 v[46:47], v[46:47], v[56:57]
	v_add_f64 v[56:57], v[138:139], v[83:84]
	v_fma_f64 v[83:84], v[68:69], s[42:43], v[112:113]
	v_fma_f64 v[106:107], v[68:69], s[10:11], v[106:107]
	v_add_f64 v[58:59], v[60:61], v[58:59]
	v_fma_f64 v[60:61], v[68:69], s[40:41], v[110:111]
	v_add_f64 v[70:71], v[91:92], v[70:71]
	v_add_f64 v[85:86], v[130:131], v[120:121]
	v_add_f64 v[87:88], v[132:133], v[122:123]
	v_add_f64 v[89:90], v[104:105], v[89:90]
	v_add_f64 v[64:65], v[79:80], v[64:65]
	v_add_f64 v[79:80], v[108:109], v[81:82]
	v_fma_f64 v[81:82], v[68:69], s[6:7], v[112:113]
	v_add_f64 v[60:61], v[60:61], v[66:67]
	v_mul_f64 v[66:67], v[74:75], s[28:29]
	v_fma_f64 v[74:75], v[68:69], s[44:45], v[77:78]
	v_mul_f64 v[54:55], v[46:47], s[24:25]
	v_fma_f64 v[77:78], v[68:69], s[4:5], v[77:78]
	v_add_f64 v[62:63], v[83:84], v[62:63]
	v_mul_f64 v[83:84], v[46:47], s[28:29]
	v_add_f64 v[70:71], v[106:107], v[70:71]
	v_add_f64 v[81:82], v[81:82], v[85:86]
	v_fma_f64 v[85:86], v[68:69], s[34:35], v[66:67]
	v_fma_f64 v[66:67], v[68:69], s[26:27], v[66:67]
	v_add_f64 v[68:69], v[74:75], v[87:88]
	v_fma_f64 v[74:75], v[44:45], s[40:41], v[54:55]
	v_add_f64 v[77:78], v[77:78], v[89:90]
	v_mul_f64 v[87:88], v[46:47], s[18:19]
	v_fma_f64 v[54:55], v[44:45], s[16:17], v[54:55]
	v_fma_f64 v[89:90], v[44:45], s[26:27], v[83:84]
	v_add_f64 v[40:41], v[40:41], v[42:43]
	v_add_f64 v[4:5], v[66:67], v[4:5]
	v_fma_f64 v[66:67], v[44:45], s[34:35], v[83:84]
	v_add_f64 v[64:65], v[74:75], v[64:65]
	v_mul_f64 v[74:75], v[46:47], s[22:23]
	v_fma_f64 v[83:84], v[44:45], s[6:7], v[87:88]
	v_add_f64 v[54:55], v[54:55], v[70:71]
	v_add_f64 v[70:71], v[89:90], v[72:73]
	v_fma_f64 v[72:73], v[44:45], s[42:43], v[87:88]
	v_mul_f64 v[87:88], v[46:47], s[38:39]
	v_mul_f64 v[46:47], v[46:47], s[12:13]
	;; [unrolled: 1-line block ×3, first 2 shown]
	v_fma_f64 v[42:43], v[44:45], s[36:37], v[74:75]
	v_fma_f64 v[74:75], v[44:45], s[10:11], v[74:75]
	v_add_f64 v[66:67], v[66:67], v[79:80]
	v_add_f64 v[56:57], v[83:84], v[56:57]
	;; [unrolled: 1-line block ×3, first 2 shown]
	v_fma_f64 v[72:73], v[44:45], s[30:31], v[87:88]
	v_fma_f64 v[79:80], v[44:45], s[46:47], v[87:88]
	v_add_f64 v[32:33], v[32:33], v[34:35]
	v_add_f64 v[42:43], v[42:43], v[81:82]
	;; [unrolled: 1-line block ×3, first 2 shown]
	v_fma_f64 v[74:75], v[44:45], s[4:5], v[46:47]
	v_mul_f64 v[81:82], v[40:41], s[22:23]
	v_fma_f64 v[44:45], v[44:45], s[44:45], v[46:47]
	v_add_f64 v[46:47], v[72:73], v[68:69]
	v_fma_f64 v[68:69], v[36:37], s[34:35], v[38:39]
	v_mul_f64 v[72:73], v[40:41], s[12:13]
	v_fma_f64 v[38:39], v[36:37], s[26:27], v[38:39]
	v_add_f64 v[77:78], v[79:80], v[77:78]
	v_add_f64 v[12:13], v[12:13], -v[14:15]
	v_fma_f64 v[79:80], v[36:37], s[10:11], v[81:82]
	v_add_f64 v[4:5], v[44:45], v[4:5]
	v_fma_f64 v[44:45], v[36:37], s[36:37], v[81:82]
	v_add_f64 v[64:65], v[68:69], v[64:65]
	v_fma_f64 v[68:69], v[36:37], s[44:45], v[72:73]
	v_mul_f64 v[81:82], v[40:41], s[38:39]
	v_add_f64 v[38:39], v[38:39], v[54:55]
	v_fma_f64 v[54:55], v[36:37], s[4:5], v[72:73]
	v_mul_f64 v[72:73], v[40:41], s[18:19]
	v_mul_f64 v[40:41], v[40:41], s[24:25]
	;; [unrolled: 1-line block ×3, first 2 shown]
	v_add_f64 v[91:92], v[134:135], v[124:125]
	v_add_f64 v[34:35], v[68:69], v[56:57]
	v_fma_f64 v[56:57], v[36:37], s[30:31], v[81:82]
	v_add_f64 v[44:45], v[44:45], v[66:67]
	v_add_f64 v[54:55], v[54:55], v[60:61]
	v_fma_f64 v[60:61], v[36:37], s[46:47], v[81:82]
	v_fma_f64 v[66:67], v[36:37], s[6:7], v[72:73]
	;; [unrolled: 1-line block ×3, first 2 shown]
	v_add_f64 v[85:86], v[85:86], v[91:92]
	v_mul_f64 v[72:73], v[32:33], s[28:29]
	v_add_f64 v[42:43], v[56:57], v[42:43]
	v_fma_f64 v[56:57], v[36:37], s[40:41], v[40:41]
	v_fma_f64 v[36:37], v[36:37], s[16:17], v[40:41]
	v_mul_f64 v[40:41], v[32:33], s[18:19]
	v_add_f64 v[60:61], v[60:61], v[62:63]
	v_fma_f64 v[62:63], v[12:13], s[46:47], v[14:15]
	v_fma_f64 v[14:15], v[12:13], s[30:31], v[14:15]
	v_add_f64 v[46:47], v[66:67], v[46:47]
	v_add_f64 v[66:67], v[68:69], v[77:78]
	;; [unrolled: 1-line block ×4, first 2 shown]
	v_fma_f64 v[68:69], v[12:13], s[6:7], v[40:41]
	v_fma_f64 v[40:41], v[12:13], s[42:43], v[40:41]
	v_add_f64 v[62:63], v[62:63], v[64:65]
	v_mul_f64 v[64:65], v[32:33], s[12:13]
	v_add_f64 v[4:5], v[14:15], v[38:39]
	v_mul_f64 v[38:39], v[32:33], s[24:25]
	;; [unrolled: 2-line block ×3, first 2 shown]
	v_add_f64 v[68:69], v[68:69], v[70:71]
	v_add_f64 v[14:15], v[40:41], v[44:45]
	v_fma_f64 v[40:41], v[12:13], s[34:35], v[72:73]
	v_fma_f64 v[44:45], v[12:13], s[26:27], v[72:73]
	;; [unrolled: 1-line block ×4, first 2 shown]
	v_add_f64 v[56:57], v[56:57], v[74:75]
	v_fma_f64 v[74:75], v[12:13], s[10:11], v[32:33]
	v_fma_f64 v[32:33], v[12:13], s[36:37], v[32:33]
	;; [unrolled: 1-line block ×4, first 2 shown]
	v_add_f64 v[34:35], v[40:41], v[34:35]
	v_add_f64 v[12:13], v[44:45], v[54:55]
	;; [unrolled: 1-line block ×8, first 2 shown]
	s_waitcnt lgkmcnt(0)
	s_barrier
	ds_write2_b64 v76, v[58:59], v[62:63] offset1:17
	ds_write2_b64 v76, v[68:69], v[34:35] offset0:34 offset1:51
	ds_write2_b64 v76, v[40:41], v[44:45] offset0:68 offset1:85
	;; [unrolled: 1-line block ×5, first 2 shown]
	ds_write_b64 v76, v[4:5] offset:1632
	v_add_u32_e32 v36, 0x800, v140
	v_add_u32_e32 v40, 0x1000, v140
	;; [unrolled: 1-line block ×3, first 2 shown]
	s_waitcnt lgkmcnt(0)
	s_barrier
	ds_read2_b64 v[32:35], v140 offset0:85 offset1:221
	ds_read2_b64 v[36:39], v36 offset0:50 offset1:186
	ds_read2_b64 v[40:43], v40 offset0:15 offset1:151
	ds_read2_b64 v[44:47], v44 offset0:108 offset1:244
	ds_read_b64 v[56:57], v141
	ds_read_b64 v[58:59], v140 offset:7752
	s_and_saveexec_b64 s[4:5], s[0:1]
	s_cbranch_execz .LBB0_18
; %bb.17:
	v_add_u32_e32 v4, 0x500, v140
	ds_read2_b64 v[12:15], v4 offset0:10 offset1:231
	v_add_u32_e32 v4, 0x1300, v140
	ds_read2_b64 v[4:7], v4 offset0:4 offset1:225
	ds_read_b64 v[50:51], v140 offset:8432
.LBB0_18:
	s_or_b64 exec, exec, s[4:5]
	s_and_saveexec_b64 s[4:5], vcc
	s_cbranch_execz .LBB0_21
; %bb.19:
	v_add_u32_e32 v60, 0x55, v142
	v_lshlrev_b32_e32 v54, 2, v60
	v_mov_b32_e32 v55, 0
	v_lshlrev_b64 v[61:62], 4, v[54:55]
	v_mov_b32_e32 v79, s9
	v_add_co_u32_e32 v77, vcc, s8, v61
	v_addc_co_u32_e32 v78, vcc, v79, v62, vcc
	global_load_dwordx4 v[61:64], v[77:78], off offset:3312
	global_load_dwordx4 v[65:68], v[77:78], off offset:3296
	;; [unrolled: 1-line block ×4, first 2 shown]
	v_lshlrev_b32_e32 v54, 2, v142
	v_lshlrev_b64 v[77:78], 4, v[54:55]
	v_mul_lo_u32 v54, s3, v100
	v_add_co_u32_e32 v93, vcc, s8, v77
	v_addc_co_u32_e32 v94, vcc, v79, v78, vcc
	global_load_dwordx4 v[77:80], v[93:94], off offset:3280
	global_load_dwordx4 v[81:84], v[93:94], off offset:3264
	;; [unrolled: 1-line block ×4, first 2 shown]
	v_mul_lo_u32 v95, s2, v101
	v_mad_u64_u32 v[93:94], s[2:3], s2, v100, 0
	s_mov_b32 s10, 0x134454ff
	s_mov_b32 s11, 0x3fee6f0e
	v_add3_u32 v94, v94, v95, v54
	s_mov_b32 s13, 0xbfee6f0e
	s_mov_b32 s12, s10
	;; [unrolled: 1-line block ×8, first 2 shown]
	s_waitcnt vmcnt(7)
	v_mul_f64 v[106:107], v[52:53], v[63:64]
	s_waitcnt vmcnt(6)
	v_mul_f64 v[104:105], v[20:21], v[67:68]
	;; [unrolled: 2-line block ×4, first 2 shown]
	s_waitcnt lgkmcnt(4)
	v_mul_f64 v[75:76], v[36:37], v[75:76]
	s_waitcnt lgkmcnt(0)
	v_mul_f64 v[63:64], v[58:59], v[63:64]
	v_mul_f64 v[71:72], v[40:41], v[71:72]
	;; [unrolled: 1-line block ×3, first 2 shown]
	s_waitcnt vmcnt(3)
	v_mul_f64 v[108:109], v[26:27], v[79:80]
	s_waitcnt vmcnt(2)
	v_mul_f64 v[110:111], v[18:19], v[83:84]
	;; [unrolled: 2-line block ×4, first 2 shown]
	v_mul_f64 v[79:80], v[38:39], v[79:80]
	v_mul_f64 v[87:88], v[42:43], v[87:88]
	;; [unrolled: 1-line block ×4, first 2 shown]
	v_fma_f64 v[40:41], v[40:41], v[69:70], -v[95:96]
	v_fma_f64 v[36:37], v[36:37], v[73:74], -v[100:101]
	;; [unrolled: 1-line block ×4, first 2 shown]
	v_fma_f64 v[24:25], v[24:25], v[73:74], v[75:76]
	v_fma_f64 v[52:53], v[52:53], v[61:62], v[63:64]
	;; [unrolled: 1-line block ×4, first 2 shown]
	v_fma_f64 v[38:39], v[38:39], v[77:78], -v[108:109]
	v_fma_f64 v[65:66], v[26:27], v[77:78], v[79:80]
	v_fma_f64 v[67:68], v[30:31], v[85:86], v[87:88]
	;; [unrolled: 1-line block ×4, first 2 shown]
	v_add_f64 v[18:19], v[40:41], -v[36:37]
	v_add_f64 v[22:23], v[44:45], -v[58:59]
	v_add_f64 v[30:31], v[36:37], v[58:59]
	v_add_f64 v[63:64], v[36:37], -v[40:41]
	v_add_f64 v[73:74], v[58:59], -v[44:45]
	v_add_f64 v[77:78], v[32:33], v[36:37]
	v_add_f64 v[83:84], v[24:25], v[52:53]
	;; [unrolled: 1-line block ×4, first 2 shown]
	v_fma_f64 v[61:62], v[34:35], v[81:82], -v[110:111]
	v_fma_f64 v[42:43], v[42:43], v[85:86], -v[112:113]
	;; [unrolled: 1-line block ×3, first 2 shown]
	v_add_f64 v[26:27], v[28:29], -v[20:21]
	v_add_f64 v[34:35], v[24:25], -v[52:53]
	;; [unrolled: 1-line block ×5, first 2 shown]
	v_add_f64 v[24:25], v[16:17], v[24:25]
	v_add_f64 v[18:19], v[18:19], v[22:23]
	v_fma_f64 v[22:23], v[30:31], -0.5, v[32:33]
	v_add_f64 v[30:31], v[63:64], v[73:74]
	v_add_f64 v[40:41], v[40:41], v[77:78]
	v_fma_f64 v[73:74], v[83:84], -0.5, v[16:17]
	v_add_f64 v[81:82], v[20:21], -v[52:53]
	v_add_f64 v[36:37], v[36:37], -v[58:59]
	v_fma_f64 v[32:33], v[75:76], -0.5, v[32:33]
	v_fma_f64 v[16:17], v[91:92], -0.5, v[16:17]
	v_add_f64 v[89:90], v[52:53], -v[20:21]
	v_add_f64 v[106:107], v[61:62], v[46:47]
	v_add_f64 v[24:25], v[28:29], v[24:25]
	v_fma_f64 v[28:29], v[26:27], s[10:11], v[22:23]
	v_fma_f64 v[22:23], v[26:27], s[12:13], v[22:23]
	v_add_f64 v[40:41], v[44:45], v[40:41]
	v_fma_f64 v[44:45], v[85:86], s[12:13], v[73:74]
	v_add_f64 v[110:111], v[38:39], v[42:43]
	v_add_f64 v[63:64], v[79:80], v[81:82]
	v_fma_f64 v[81:82], v[34:35], s[12:13], v[32:33]
	v_fma_f64 v[32:33], v[34:35], s[10:11], v[32:33]
	;; [unrolled: 1-line block ×4, first 2 shown]
	v_add_f64 v[104:105], v[65:66], -v[67:68]
	v_add_f64 v[75:76], v[87:88], v[89:90]
	v_fma_f64 v[77:78], v[106:107], -0.5, v[56:57]
	v_fma_f64 v[16:17], v[36:37], s[12:13], v[16:17]
	v_add_f64 v[87:88], v[20:21], v[24:25]
	v_fma_f64 v[22:23], v[34:35], s[6:7], v[22:23]
	v_add_f64 v[20:21], v[40:41], v[58:59]
	v_fma_f64 v[40:41], v[36:37], s[6:7], v[44:45]
	v_add_f64 v[108:109], v[69:70], -v[71:72]
	v_fma_f64 v[79:80], v[110:111], -0.5, v[56:57]
	v_fma_f64 v[24:25], v[34:35], s[4:5], v[28:29]
	v_fma_f64 v[34:35], v[26:27], s[4:5], v[81:82]
	;; [unrolled: 1-line block ×5, first 2 shown]
	v_add_f64 v[95:96], v[38:39], -v[61:62]
	v_add_f64 v[100:101], v[42:43], -v[46:47]
	v_fma_f64 v[89:90], v[104:105], s[10:11], v[77:78]
	v_fma_f64 v[16:17], v[85:86], s[4:5], v[16:17]
	;; [unrolled: 1-line block ×9, first 2 shown]
	v_add_f64 v[44:45], v[61:62], -v[38:39]
	v_add_f64 v[58:59], v[46:47], -v[42:43]
	v_fma_f64 v[63:64], v[108:109], s[12:13], v[79:80]
	v_fma_f64 v[73:74], v[108:109], s[10:11], v[79:80]
	v_add_f64 v[56:57], v[56:57], v[61:62]
	v_fma_f64 v[24:25], v[18:19], s[2:3], v[24:25]
	v_fma_f64 v[34:35], v[75:76], s[2:3], v[16:17]
	v_add_f64 v[16:17], v[95:96], v[100:101]
	v_fma_f64 v[75:76], v[108:109], s[4:5], v[89:90]
	v_add_f64 v[18:19], v[87:88], v[52:53]
	;; [unrolled: 2-line block ×3, first 2 shown]
	v_add_f64 v[79:80], v[44:45], v[58:59]
	v_fma_f64 v[58:59], v[104:105], s[4:5], v[63:64]
	v_fma_f64 v[63:64], v[104:105], s[6:7], v[73:74]
	v_add_f64 v[56:57], v[38:39], v[56:57]
	v_add_f64 v[73:74], v[65:66], v[67:68]
	v_fma_f64 v[40:41], v[16:17], s[2:3], v[75:76]
	v_fma_f64 v[44:45], v[16:17], s[2:3], v[52:53]
	v_fma_f64 v[16:17], v[77:78], -0.5, v[48:49]
	v_add_f64 v[38:39], v[38:39], -v[42:43]
	v_add_f64 v[52:53], v[61:62], -v[46:47]
	;; [unrolled: 1-line block ×3, first 2 shown]
	v_add_f64 v[42:43], v[56:57], v[42:43]
	v_fma_f64 v[56:57], v[73:74], -0.5, v[48:49]
	v_add_f64 v[73:74], v[67:68], -v[71:72]
	v_add_f64 v[77:78], v[48:49], v[69:70]
	v_fma_f64 v[58:59], v[79:80], s[2:3], v[58:59]
	v_fma_f64 v[75:76], v[38:39], s[12:13], v[16:17]
	;; [unrolled: 1-line block ×4, first 2 shown]
	v_add_f64 v[69:70], v[69:70], -v[65:66]
	v_add_f64 v[79:80], v[71:72], -v[67:68]
	v_fma_f64 v[81:82], v[52:53], s[10:11], v[56:57]
	v_fma_f64 v[56:57], v[52:53], s[12:13], v[56:57]
	v_add_f64 v[48:49], v[42:43], v[46:47]
	v_add_f64 v[42:43], v[61:62], v[73:74]
	;; [unrolled: 1-line block ×3, first 2 shown]
	v_fma_f64 v[61:62], v[52:53], s[6:7], v[75:76]
	v_fma_f64 v[16:17], v[52:53], s[4:5], v[16:17]
	v_mad_u64_u32 v[73:74], s[16:17], s20, v142, 0
	v_add_f64 v[52:53], v[69:70], v[79:80]
	v_fma_f64 v[65:66], v[38:39], s[6:7], v[81:82]
	v_fma_f64 v[69:70], v[38:39], s[4:5], v[56:57]
	v_add_f64 v[46:47], v[67:68], v[46:47]
	v_fma_f64 v[38:39], v[42:43], s[2:3], v[61:62]
	v_fma_f64 v[42:43], v[42:43], s[2:3], v[16:17]
	v_mov_b32_e32 v16, v74
	v_mad_u64_u32 v[16:17], s[16:17], s21, v142, v[16:17]
	v_fma_f64 v[56:57], v[52:53], s[2:3], v[65:66]
	v_fma_f64 v[61:62], v[52:53], s[2:3], v[69:70]
	v_mov_b32_e32 v74, v16
	v_lshlrev_b64 v[16:17], 4, v[93:94]
	v_mov_b32_e32 v52, s15
	v_add_co_u32_e32 v54, vcc, s14, v16
	v_add_u32_e32 v67, 0xdd, v142
	v_add_f64 v[46:47], v[46:47], v[71:72]
	v_addc_co_u32_e32 v65, vcc, v52, v17, vcc
	v_mad_u64_u32 v[52:53], s[14:15], s20, v67, 0
	v_lshlrev_b64 v[16:17], 4, v[98:99]
	s_movk_i32 s16, 0x374
	v_add_co_u32_e32 v16, vcc, v54, v16
	v_addc_co_u32_e32 v17, vcc, v65, v17, vcc
	v_lshlrev_b64 v[65:66], 4, v[73:74]
	v_mad_u64_u32 v[53:54], s[14:15], s21, v67, v[53:54]
	v_add_co_u32_e32 v65, vcc, v16, v65
	v_addc_co_u32_e32 v66, vcc, v17, v66, vcc
	global_store_dwordx4 v[65:66], v[46:49], off
	v_add_u32_e32 v65, 0x297, v142
	v_lshlrev_b64 v[46:47], 4, v[52:53]
	v_add_u32_e32 v52, 0x1ba, v142
	v_mad_u64_u32 v[48:49], s[14:15], s20, v52, 0
	v_add_co_u32_e32 v46, vcc, v16, v46
	v_mad_u64_u32 v[52:53], s[14:15], s21, v52, v[49:50]
	v_addc_co_u32_e32 v47, vcc, v17, v47, vcc
	v_mov_b32_e32 v49, v52
	v_mad_u64_u32 v[53:54], s[14:15], s20, v65, 0
	global_store_dwordx4 v[46:47], v[61:64], off
	v_lshlrev_b64 v[46:47], 4, v[48:49]
	v_mov_b32_e32 v48, v54
	v_add_co_u32_e32 v46, vcc, v16, v46
	v_addc_co_u32_e32 v47, vcc, v17, v47, vcc
	global_store_dwordx4 v[46:47], v[42:45], off
	v_add_u32_e32 v46, 0x374, v142
	v_mad_u64_u32 v[48:49], s[14:15], s21, v65, v[48:49]
	v_mad_u64_u32 v[44:45], s[14:15], s20, v46, 0
	s_mov_b32 s14, 0x288b0129
	v_mul_hi_u32 v47, v60, s14
	v_mad_u64_u32 v[45:46], s[14:15], s21, v46, v[45:46]
	v_mov_b32_e32 v54, v48
	v_sub_u32_e32 v46, v60, v47
	v_lshrrev_b32_e32 v46, 1, v46
	v_add_u32_e32 v46, v46, v47
	v_lshrrev_b32_e32 v46, 7, v46
	v_mad_u32_u24 v48, v46, s16, v60
	v_lshlrev_b64 v[42:43], 4, v[53:54]
	v_mad_u64_u32 v[46:47], s[14:15], s20, v48, 0
	v_add_co_u32_e32 v42, vcc, v16, v42
	v_addc_co_u32_e32 v43, vcc, v17, v43, vcc
	global_store_dwordx4 v[42:43], v[38:41], off
	v_add_u32_e32 v42, 0xdd, v48
	v_mov_b32_e32 v40, v47
	v_mad_u64_u32 v[40:41], s[14:15], s21, v48, v[40:41]
	v_lshlrev_b64 v[38:39], 4, v[44:45]
	v_add_u32_e32 v44, 0x1ba, v48
	v_mov_b32_e32 v47, v40
	v_mad_u64_u32 v[40:41], s[14:15], s20, v42, 0
	v_add_co_u32_e32 v38, vcc, v16, v38
	v_addc_co_u32_e32 v39, vcc, v17, v39, vcc
	v_mad_u64_u32 v[41:42], s[14:15], s21, v42, v[41:42]
	global_store_dwordx4 v[38:39], v[56:59], off
	v_lshlrev_b64 v[38:39], 4, v[46:47]
	v_mad_u64_u32 v[42:43], s[14:15], s20, v44, 0
	v_add_co_u32_e32 v38, vcc, v16, v38
	v_addc_co_u32_e32 v39, vcc, v17, v39, vcc
	global_store_dwordx4 v[38:39], v[18:21], off
	s_nop 0
	v_lshlrev_b64 v[18:19], 4, v[40:41]
	v_mov_b32_e32 v20, v43
	v_mad_u64_u32 v[20:21], s[14:15], s21, v44, v[20:21]
	v_add_co_u32_e32 v18, vcc, v16, v18
	v_addc_co_u32_e32 v19, vcc, v17, v19, vcc
	global_store_dwordx4 v[18:19], v[34:37], off
	v_mov_b32_e32 v43, v20
	v_add_u32_e32 v34, 0x297, v48
	v_mad_u64_u32 v[20:21], s[14:15], s20, v34, 0
	v_add_u32_e32 v37, 0x374, v48
	v_lshlrev_b64 v[18:19], 4, v[42:43]
	v_mad_u64_u32 v[34:35], s[14:15], s21, v34, v[21:22]
	v_mad_u64_u32 v[35:36], s[14:15], s20, v37, 0
	v_add_co_u32_e32 v18, vcc, v16, v18
	v_addc_co_u32_e32 v19, vcc, v17, v19, vcc
	v_mov_b32_e32 v21, v34
	global_store_dwordx4 v[18:19], v[26:29], off
	v_lshlrev_b64 v[18:19], 4, v[20:21]
	v_mov_b32_e32 v20, v36
	v_mad_u64_u32 v[20:21], s[14:15], s21, v37, v[20:21]
	v_add_co_u32_e32 v18, vcc, v16, v18
	v_addc_co_u32_e32 v19, vcc, v17, v19, vcc
	v_mov_b32_e32 v36, v20
	global_store_dwordx4 v[18:19], v[22:25], off
	v_lshlrev_b64 v[18:19], 4, v[35:36]
	v_add_co_u32_e32 v18, vcc, v16, v18
	v_addc_co_u32_e32 v19, vcc, v17, v19, vcc
	global_store_dwordx4 v[18:19], v[30:33], off
	s_and_b64 exec, exec, s[0:1]
	s_cbranch_execz .LBB0_21
; %bb.20:
	v_add_u32_e32 v44, 0xaa, v142
	v_subrev_u32_e32 v18, 51, v142
	v_cndmask_b32_e64 v18, v18, v44, s[0:1]
	v_lshlrev_b32_e32 v54, 2, v18
	v_lshlrev_b64 v[18:19], 4, v[54:55]
	v_mov_b32_e32 v20, s9
	v_add_co_u32_e32 v34, vcc, s8, v18
	v_addc_co_u32_e32 v35, vcc, v20, v19, vcc
	global_load_dwordx4 v[18:21], v[34:35], off offset:3264
	global_load_dwordx4 v[22:25], v[34:35], off offset:3280
	;; [unrolled: 1-line block ×4, first 2 shown]
	v_add_u32_e32 v46, 0x187, v142
	v_add_u32_e32 v47, 0x264, v142
	v_mad_u64_u32 v[34:35], s[0:1], s20, v44, 0
	v_mad_u64_u32 v[36:37], s[0:1], s20, v46, 0
	v_add_u32_e32 v48, 0x341, v142
	v_mad_u64_u32 v[38:39], s[0:1], s20, v47, 0
	v_mad_u64_u32 v[40:41], s[0:1], s20, v48, 0
	;; [unrolled: 3-line block ×3, first 2 shown]
	v_mad_u64_u32 v[45:46], s[0:1], s21, v46, v[37:38]
	v_mad_u64_u32 v[46:47], s[0:1], s21, v47, v[39:40]
	;; [unrolled: 1-line block ×4, first 2 shown]
	v_mov_b32_e32 v35, v44
	v_mov_b32_e32 v37, v45
	;; [unrolled: 1-line block ×3, first 2 shown]
	v_lshlrev_b64 v[34:35], 4, v[34:35]
	v_lshlrev_b64 v[36:37], 4, v[36:37]
	v_add_co_u32_e32 v34, vcc, v16, v34
	v_addc_co_u32_e32 v35, vcc, v17, v35, vcc
	v_lshlrev_b64 v[38:39], 4, v[38:39]
	v_add_co_u32_e32 v36, vcc, v16, v36
	v_addc_co_u32_e32 v37, vcc, v17, v37, vcc
	v_mov_b32_e32 v41, v47
	v_lshlrev_b64 v[40:41], 4, v[40:41]
	s_waitcnt vmcnt(3)
	v_mul_f64 v[43:44], v[14:15], v[20:21]
	v_mul_f64 v[20:21], v[10:11], v[20:21]
	s_waitcnt vmcnt(2)
	v_mul_f64 v[45:46], v[4:5], v[24:25]
	v_mul_f64 v[24:25], v[0:1], v[24:25]
	;; [unrolled: 3-line block ×4, first 2 shown]
	v_fma_f64 v[10:11], v[10:11], v[18:19], v[43:44]
	v_fma_f64 v[14:15], v[14:15], v[18:19], -v[20:21]
	v_fma_f64 v[0:1], v[0:1], v[22:23], v[45:46]
	v_fma_f64 v[4:5], v[4:5], v[22:23], -v[24:25]
	v_fma_f64 v[2:3], v[2:3], v[26:27], v[52:53]
	v_fma_f64 v[6:7], v[6:7], v[26:27], -v[28:29]
	v_fma_f64 v[18:19], v[50:51], v[30:31], -v[54:55]
	v_fma_f64 v[20:21], v[102:103], v[30:31], v[32:33]
	v_add_co_u32_e32 v22, vcc, v16, v38
	v_addc_co_u32_e32 v23, vcc, v17, v39, vcc
	v_add_f64 v[24:25], v[8:9], v[10:11]
	v_add_f64 v[26:27], v[0:1], v[2:3]
	v_add_f64 v[32:33], v[10:11], -v[0:1]
	v_add_f64 v[38:39], v[20:21], -v[2:3]
	v_add_f64 v[51:52], v[12:13], v[14:15]
	v_add_f64 v[53:54], v[4:5], v[6:7]
	;; [unrolled: 1-line block ×4, first 2 shown]
	v_add_f64 v[28:29], v[14:15], -v[18:19]
	v_add_f64 v[30:31], v[4:5], -v[6:7]
	;; [unrolled: 1-line block ×7, first 2 shown]
	v_add_f64 v[0:1], v[24:25], v[0:1]
	v_fma_f64 v[24:25], v[26:27], -0.5, v[8:9]
	v_add_f64 v[26:27], v[32:33], v[38:39]
	v_add_f64 v[4:5], v[51:52], v[4:5]
	v_fma_f64 v[38:39], v[53:54], -0.5, v[12:13]
	v_add_f64 v[49:50], v[2:3], -v[20:21]
	v_fma_f64 v[8:9], v[43:44], -0.5, v[8:9]
	v_fma_f64 v[12:13], v[61:62], -0.5, v[12:13]
	v_add_f64 v[59:60], v[18:19], -v[6:7]
	v_add_f64 v[63:64], v[6:7], -v[18:19]
	v_add_f64 v[0:1], v[0:1], v[2:3]
	v_fma_f64 v[2:3], v[28:29], s[12:13], v[24:25]
	v_add_f64 v[4:5], v[4:5], v[6:7]
	v_fma_f64 v[6:7], v[10:11], s[10:11], v[38:39]
	;; [unrolled: 2-line block ×3, first 2 shown]
	v_fma_f64 v[45:46], v[30:31], s[10:11], v[8:9]
	v_fma_f64 v[49:50], v[55:56], s[12:13], v[12:13]
	;; [unrolled: 1-line block ×5, first 2 shown]
	v_add_f64 v[43:44], v[57:58], v[59:60]
	v_add_f64 v[0:1], v[0:1], v[20:21]
	v_fma_f64 v[20:21], v[30:31], s[4:5], v[2:3]
	v_fma_f64 v[6:7], v[55:56], s[6:7], v[6:7]
	v_add_f64 v[14:15], v[14:15], v[63:64]
	v_fma_f64 v[24:25], v[30:31], s[6:7], v[24:25]
	v_fma_f64 v[30:31], v[28:29], s[4:5], v[45:46]
	;; [unrolled: 1-line block ×6, first 2 shown]
	v_add_f64 v[2:3], v[4:5], v[18:19]
	v_fma_f64 v[4:5], v[26:27], s[2:3], v[20:21]
	v_fma_f64 v[6:7], v[43:44], s[2:3], v[6:7]
	;; [unrolled: 1-line block ×8, first 2 shown]
	v_add_co_u32_e32 v28, vcc, v16, v40
	v_mov_b32_e32 v43, v48
	v_addc_co_u32_e32 v29, vcc, v17, v41, vcc
	global_store_dwordx4 v[34:35], v[0:3], off
	global_store_dwordx4 v[36:37], v[4:7], off
	;; [unrolled: 1-line block ×4, first 2 shown]
	v_lshlrev_b64 v[0:1], 4, v[42:43]
	v_add_co_u32_e32 v0, vcc, v16, v0
	v_addc_co_u32_e32 v1, vcc, v17, v1, vcc
	global_store_dwordx4 v[0:1], v[18:21], off
.LBB0_21:
	s_endpgm
	.section	.rodata,"a",@progbits
	.p2align	6, 0x0
	.amdhsa_kernel fft_rtc_back_len1105_factors_17_13_5_wgs_255_tpt_85_halfLds_dp_op_CI_CI_sbrr_dirReg
		.amdhsa_group_segment_fixed_size 0
		.amdhsa_private_segment_fixed_size 0
		.amdhsa_kernarg_size 104
		.amdhsa_user_sgpr_count 6
		.amdhsa_user_sgpr_private_segment_buffer 1
		.amdhsa_user_sgpr_dispatch_ptr 0
		.amdhsa_user_sgpr_queue_ptr 0
		.amdhsa_user_sgpr_kernarg_segment_ptr 1
		.amdhsa_user_sgpr_dispatch_id 0
		.amdhsa_user_sgpr_flat_scratch_init 0
		.amdhsa_user_sgpr_private_segment_size 0
		.amdhsa_uses_dynamic_stack 0
		.amdhsa_system_sgpr_private_segment_wavefront_offset 0
		.amdhsa_system_sgpr_workgroup_id_x 1
		.amdhsa_system_sgpr_workgroup_id_y 0
		.amdhsa_system_sgpr_workgroup_id_z 0
		.amdhsa_system_sgpr_workgroup_info 0
		.amdhsa_system_vgpr_workitem_id 0
		.amdhsa_next_free_vgpr 206
		.amdhsa_next_free_sgpr 62
		.amdhsa_reserve_vcc 1
		.amdhsa_reserve_flat_scratch 0
		.amdhsa_float_round_mode_32 0
		.amdhsa_float_round_mode_16_64 0
		.amdhsa_float_denorm_mode_32 3
		.amdhsa_float_denorm_mode_16_64 3
		.amdhsa_dx10_clamp 1
		.amdhsa_ieee_mode 1
		.amdhsa_fp16_overflow 0
		.amdhsa_exception_fp_ieee_invalid_op 0
		.amdhsa_exception_fp_denorm_src 0
		.amdhsa_exception_fp_ieee_div_zero 0
		.amdhsa_exception_fp_ieee_overflow 0
		.amdhsa_exception_fp_ieee_underflow 0
		.amdhsa_exception_fp_ieee_inexact 0
		.amdhsa_exception_int_div_zero 0
	.end_amdhsa_kernel
	.text
.Lfunc_end0:
	.size	fft_rtc_back_len1105_factors_17_13_5_wgs_255_tpt_85_halfLds_dp_op_CI_CI_sbrr_dirReg, .Lfunc_end0-fft_rtc_back_len1105_factors_17_13_5_wgs_255_tpt_85_halfLds_dp_op_CI_CI_sbrr_dirReg
                                        ; -- End function
	.section	.AMDGPU.csdata,"",@progbits
; Kernel info:
; codeLenInByte = 16748
; NumSgprs: 66
; NumVgprs: 206
; ScratchSize: 0
; MemoryBound: 1
; FloatMode: 240
; IeeeMode: 1
; LDSByteSize: 0 bytes/workgroup (compile time only)
; SGPRBlocks: 8
; VGPRBlocks: 51
; NumSGPRsForWavesPerEU: 66
; NumVGPRsForWavesPerEU: 206
; Occupancy: 1
; WaveLimiterHint : 1
; COMPUTE_PGM_RSRC2:SCRATCH_EN: 0
; COMPUTE_PGM_RSRC2:USER_SGPR: 6
; COMPUTE_PGM_RSRC2:TRAP_HANDLER: 0
; COMPUTE_PGM_RSRC2:TGID_X_EN: 1
; COMPUTE_PGM_RSRC2:TGID_Y_EN: 0
; COMPUTE_PGM_RSRC2:TGID_Z_EN: 0
; COMPUTE_PGM_RSRC2:TIDIG_COMP_CNT: 0
	.type	__hip_cuid_3857c3cf30b0158b,@object ; @__hip_cuid_3857c3cf30b0158b
	.section	.bss,"aw",@nobits
	.globl	__hip_cuid_3857c3cf30b0158b
__hip_cuid_3857c3cf30b0158b:
	.byte	0                               ; 0x0
	.size	__hip_cuid_3857c3cf30b0158b, 1

	.ident	"AMD clang version 19.0.0git (https://github.com/RadeonOpenCompute/llvm-project roc-6.4.0 25133 c7fe45cf4b819c5991fe208aaa96edf142730f1d)"
	.section	".note.GNU-stack","",@progbits
	.addrsig
	.addrsig_sym __hip_cuid_3857c3cf30b0158b
	.amdgpu_metadata
---
amdhsa.kernels:
  - .args:
      - .actual_access:  read_only
        .address_space:  global
        .offset:         0
        .size:           8
        .value_kind:     global_buffer
      - .offset:         8
        .size:           8
        .value_kind:     by_value
      - .actual_access:  read_only
        .address_space:  global
        .offset:         16
        .size:           8
        .value_kind:     global_buffer
      - .actual_access:  read_only
        .address_space:  global
        .offset:         24
        .size:           8
        .value_kind:     global_buffer
      - .actual_access:  read_only
        .address_space:  global
        .offset:         32
        .size:           8
        .value_kind:     global_buffer
      - .offset:         40
        .size:           8
        .value_kind:     by_value
      - .actual_access:  read_only
        .address_space:  global
        .offset:         48
        .size:           8
        .value_kind:     global_buffer
      - .actual_access:  read_only
        .address_space:  global
        .offset:         56
        .size:           8
        .value_kind:     global_buffer
      - .offset:         64
        .size:           4
        .value_kind:     by_value
      - .actual_access:  read_only
        .address_space:  global
        .offset:         72
        .size:           8
        .value_kind:     global_buffer
      - .actual_access:  read_only
        .address_space:  global
        .offset:         80
        .size:           8
        .value_kind:     global_buffer
      - .actual_access:  read_only
        .address_space:  global
        .offset:         88
        .size:           8
        .value_kind:     global_buffer
      - .actual_access:  write_only
        .address_space:  global
        .offset:         96
        .size:           8
        .value_kind:     global_buffer
    .group_segment_fixed_size: 0
    .kernarg_segment_align: 8
    .kernarg_segment_size: 104
    .language:       OpenCL C
    .language_version:
      - 2
      - 0
    .max_flat_workgroup_size: 255
    .name:           fft_rtc_back_len1105_factors_17_13_5_wgs_255_tpt_85_halfLds_dp_op_CI_CI_sbrr_dirReg
    .private_segment_fixed_size: 0
    .sgpr_count:     66
    .sgpr_spill_count: 0
    .symbol:         fft_rtc_back_len1105_factors_17_13_5_wgs_255_tpt_85_halfLds_dp_op_CI_CI_sbrr_dirReg.kd
    .uniform_work_group_size: 1
    .uses_dynamic_stack: false
    .vgpr_count:     206
    .vgpr_spill_count: 0
    .wavefront_size: 64
amdhsa.target:   amdgcn-amd-amdhsa--gfx906
amdhsa.version:
  - 1
  - 2
...

	.end_amdgpu_metadata
